;; amdgpu-corpus repo=ROCm/rocFFT kind=compiled arch=gfx1201 opt=O3
	.text
	.amdgcn_target "amdgcn-amd-amdhsa--gfx1201"
	.amdhsa_code_object_version 6
	.protected	bluestein_single_back_len182_dim1_dp_op_CI_CI ; -- Begin function bluestein_single_back_len182_dim1_dp_op_CI_CI
	.globl	bluestein_single_back_len182_dim1_dp_op_CI_CI
	.p2align	8
	.type	bluestein_single_back_len182_dim1_dp_op_CI_CI,@function
bluestein_single_back_len182_dim1_dp_op_CI_CI: ; @bluestein_single_back_len182_dim1_dp_op_CI_CI
; %bb.0:
	s_load_b128 s[12:15], s[0:1], 0x28
	v_mul_u32_u24_e32 v1, 0x13b2, v0
	v_mov_b32_e32 v8, 0
	s_mov_b32 s2, exec_lo
	s_delay_alu instid0(VALU_DEP_2) | instskip(NEXT) | instid1(VALU_DEP_1)
	v_lshrrev_b32_e32 v1, 16, v1
	v_lshl_add_u32 v7, ttmp9, 2, v1
	s_wait_kmcnt 0x0
	s_delay_alu instid0(VALU_DEP_1)
	v_cmpx_gt_u64_e64 s[12:13], v[7:8]
	s_cbranch_execz .LBB0_15
; %bb.1:
	s_clause 0x1
	s_load_b128 s[4:7], s[0:1], 0x18
	s_load_b64 s[34:35], s[0:1], 0x0
	v_mul_lo_u16 v2, v1, 13
	s_load_b64 s[64:65], s[0:1], 0x38
	s_delay_alu instid0(VALU_DEP_1) | instskip(NEXT) | instid1(VALU_DEP_1)
	v_sub_nc_u16 v2, v0, v2
	v_and_b32_e32 v10, 0xffff, v2
	s_delay_alu instid0(VALU_DEP_1)
	v_or_b32_e32 v9, 0x70, v10
	scratch_store_b32 off, v10, off         ; 4-byte Folded Spill
	s_wait_kmcnt 0x0
	s_load_b128 s[8:11], s[4:5], 0x0
	scratch_store_b32 off, v9, off offset:36 ; 4-byte Folded Spill
	s_wait_kmcnt 0x0
	v_mad_co_u64_u32 v[3:4], null, s10, v7, 0
	v_mad_co_u64_u32 v[5:6], null, s8, v10, 0
	s_mul_u64 s[2:3], s[8:9], 0xe0
	s_delay_alu instid0(VALU_DEP_2) | instskip(NEXT) | instid1(VALU_DEP_2)
	v_mov_b32_e32 v0, v4
	v_mov_b32_e32 v4, v6
	;; [unrolled: 1-line block ×3, first 2 shown]
	scratch_store_b64 off, v[6:7], off offset:200 ; 8-byte Folded Spill
	v_mad_co_u64_u32 v[6:7], null, s11, v7, v[0:1]
	v_and_b32_e32 v1, 3, v1
	s_delay_alu instid0(VALU_DEP_1) | instskip(NEXT) | instid1(VALU_DEP_1)
	v_mul_u32_u24_e32 v1, 0xb6, v1
	v_lshlrev_b32_e32 v255, 4, v1
	v_mad_co_u64_u32 v[7:8], null, s9, v10, v[4:5]
	v_mov_b32_e32 v4, v6
	s_delay_alu instid0(VALU_DEP_1) | instskip(NEXT) | instid1(VALU_DEP_3)
	v_lshlrev_b64_e32 v[3:4], 4, v[3:4]
	v_mov_b32_e32 v6, v7
	s_delay_alu instid0(VALU_DEP_1) | instskip(NEXT) | instid1(VALU_DEP_3)
	v_lshlrev_b64_e32 v[5:6], 4, v[5:6]
	v_add_co_u32 v52, vcc_lo, s14, v3
	s_delay_alu instid0(VALU_DEP_4) | instskip(SKIP_1) | instid1(VALU_DEP_3)
	v_add_co_ci_u32_e32 v53, vcc_lo, s15, v4, vcc_lo
	v_mad_co_u64_u32 v[3:4], null, s8, v9, 0
	v_add_co_u32 v7, vcc_lo, v52, v5
	s_wait_alu 0xfffd
	s_delay_alu instid0(VALU_DEP_3) | instskip(NEXT) | instid1(VALU_DEP_2)
	v_add_co_ci_u32_e32 v8, vcc_lo, v53, v6, vcc_lo
	v_add_co_u32 v11, vcc_lo, v7, s2
	s_wait_alu 0xfffd
	s_delay_alu instid0(VALU_DEP_2) | instskip(SKIP_1) | instid1(VALU_DEP_3)
	v_add_co_ci_u32_e32 v12, vcc_lo, s3, v8, vcc_lo
	v_mad_co_u64_u32 v[4:5], null, s9, v9, v[4:5]
	v_add_co_u32 v15, vcc_lo, v11, s2
	s_wait_alu 0xfffd
	s_delay_alu instid0(VALU_DEP_3) | instskip(NEXT) | instid1(VALU_DEP_2)
	v_add_co_ci_u32_e32 v16, vcc_lo, s3, v12, vcc_lo
	v_add_co_u32 v17, vcc_lo, v15, s2
	s_wait_alu 0xfffd
	s_delay_alu instid0(VALU_DEP_2) | instskip(SKIP_1) | instid1(VALU_DEP_3)
	v_add_co_ci_u32_e32 v18, vcc_lo, s3, v16, vcc_lo
	v_lshlrev_b64_e32 v[3:4], 4, v[3:4]
	v_add_co_u32 v19, vcc_lo, v17, s2
	s_wait_alu 0xfffd
	s_delay_alu instid0(VALU_DEP_3) | instskip(NEXT) | instid1(VALU_DEP_2)
	v_add_co_ci_u32_e32 v20, vcc_lo, s3, v18, vcc_lo
	v_add_co_u32 v21, vcc_lo, v19, s2
	s_wait_alu 0xfffd
	s_delay_alu instid0(VALU_DEP_2) | instskip(NEXT) | instid1(VALU_DEP_2)
	v_add_co_ci_u32_e32 v22, vcc_lo, s3, v20, vcc_lo
	v_add_co_u32 v23, vcc_lo, v21, s2
	s_wait_alu 0xfffd
	s_delay_alu instid0(VALU_DEP_2) | instskip(NEXT) | instid1(VALU_DEP_2)
	v_add_co_ci_u32_e32 v24, vcc_lo, s3, v22, vcc_lo
	v_add_co_u32 v25, vcc_lo, v23, s2
	s_wait_alu 0xfffd
	s_delay_alu instid0(VALU_DEP_2) | instskip(SKIP_3) | instid1(VALU_DEP_3)
	v_add_co_ci_u32_e32 v26, vcc_lo, s3, v24, vcc_lo
	v_add_co_u32 v3, vcc_lo, v52, v3
	s_wait_alu 0xfffd
	v_add_co_ci_u32_e32 v4, vcc_lo, v53, v4, vcc_lo
	v_mad_co_u64_u32 v[27:28], null, 0x1c0, s8, v[25:26]
	s_delay_alu instid0(VALU_DEP_1)
	v_dual_mov_b32 v9, v28 :: v_dual_lshlrev_b32 v0, 4, v10
	s_clause 0x1
	global_load_b128 v[43:46], v0, s[34:35]
	global_load_b128 v[39:42], v0, s[34:35] offset:224
	v_mad_co_u64_u32 v[28:29], null, 0x1c0, s9, v[9:10]
	s_clause 0x7
	global_load_b128 v[122:125], v0, s[34:35] offset:448
	global_load_b128 v[47:50], v0, s[34:35] offset:672
	;; [unrolled: 1-line block ×8, first 2 shown]
	s_clause 0x5
	global_load_b128 v[3:6], v[3:4], off
	global_load_b128 v[7:10], v[7:8], off
	;; [unrolled: 1-line block ×9, first 2 shown]
	v_add_co_u32 v15, vcc_lo, v27, s2
	s_wait_alu 0xfffd
	v_add_co_ci_u32_e32 v16, vcc_lo, s3, v28, vcc_lo
	global_load_b128 v[78:81], v[27:28], off
	v_add_co_u32 v17, vcc_lo, v15, s2
	s_wait_alu 0xfffd
	v_add_co_ci_u32_e32 v18, vcc_lo, s3, v16, vcc_lo
	global_load_b128 v[82:85], v[15:16], off
	v_add_co_u32 v15, vcc_lo, v17, s2
	s_wait_alu 0xfffd
	v_add_co_ci_u32_e32 v16, vcc_lo, s3, v18, vcc_lo
	s_clause 0x1
	global_load_b128 v[154:157], v0, s[34:35] offset:2240
	global_load_b128 v[150:153], v0, s[34:35] offset:2464
	global_load_b128 v[86:89], v[17:18], off
	global_load_b128 v[158:161], v0, s[34:35] offset:2688
	global_load_b128 v[90:93], v[15:16], off
	s_load_b128 s[4:7], s[6:7], 0x0
	v_add_nc_u32_e32 v228, v255, v0
	v_cmp_eq_u16_e32 vcc_lo, 0, v2
	s_wait_loadcnt 0x19
	scratch_store_b128 off, v[43:46], off offset:56 ; 16-byte Folded Spill
	s_wait_loadcnt 0x18
	scratch_store_b128 off, v[39:42], off offset:40 ; 16-byte Folded Spill
	s_wait_loadcnt 0xe
	v_mul_f64_e32 v[15:16], v[9:10], v[45:46]
	v_mul_f64_e32 v[17:18], v[7:8], v[45:46]
	s_wait_loadcnt 0xd
	v_mul_f64_e32 v[23:24], v[13:14], v[41:42]
	v_mul_f64_e32 v[25:26], v[11:12], v[41:42]
	;; [unrolled: 3-line block ×3, first 2 shown]
	v_mul_f64_e32 v[21:22], v[3:4], v[144:145]
	v_mul_f64_e32 v[29:30], v[54:55], v[124:125]
	s_wait_loadcnt 0xb
	v_mul_f64_e32 v[31:32], v[60:61], v[49:50]
	v_mul_f64_e32 v[33:34], v[58:59], v[49:50]
	s_wait_loadcnt 0xa
	v_mul_f64_e32 v[35:36], v[64:65], v[136:137]
	s_wait_loadcnt 0x6
	v_mul_f64_e32 v[106:107], v[80:81], v[148:149]
	v_mul_f64_e32 v[108:109], v[78:79], v[148:149]
	;; [unrolled: 1-line block ×6, first 2 shown]
	s_wait_loadcnt 0x4
	v_mul_f64_e32 v[110:111], v[84:85], v[156:157]
	v_mul_f64_e32 v[112:113], v[82:83], v[156:157]
	s_wait_loadcnt 0x2
	v_mul_f64_e32 v[114:115], v[88:89], v[152:153]
	v_mul_f64_e32 v[116:117], v[86:87], v[152:153]
	;; [unrolled: 3-line block ×3, first 2 shown]
	v_mul_f64_e32 v[100:101], v[70:71], v[140:141]
	v_mul_f64_e32 v[102:103], v[76:77], v[132:133]
	;; [unrolled: 1-line block ×3, first 2 shown]
	s_clause 0xa
	scratch_store_b128 off, v[142:145], off offset:168
	scratch_store_b128 off, v[146:149], off offset:184
	scratch_store_b128 off, v[122:125], off offset:88
	scratch_store_b128 off, v[47:50], off offset:72
	scratch_store_b128 off, v[134:137], off offset:136
	scratch_store_b128 off, v[138:141], off offset:152
	scratch_store_b128 off, v[126:129], off offset:104
	scratch_store_b128 off, v[130:133], off offset:120
	scratch_store_b128 off, v[154:157], off offset:224
	scratch_store_b128 off, v[150:153], off offset:208
	scratch_store_b128 off, v[158:161], off offset:240
	v_fma_f64 v[7:8], v[7:8], v[43:44], v[15:16]
	v_fma_f64 v[9:10], v[9:10], v[43:44], -v[17:18]
	v_fma_f64 v[11:12], v[11:12], v[39:40], v[23:24]
	v_fma_f64 v[13:14], v[13:14], v[39:40], -v[25:26]
	v_fma_f64 v[54:55], v[54:55], v[122:123], v[27:28]
	v_fma_f64 v[3:4], v[3:4], v[142:143], v[19:20]
	v_fma_f64 v[5:6], v[5:6], v[142:143], -v[21:22]
	v_fma_f64 v[56:57], v[56:57], v[122:123], -v[29:30]
	v_fma_f64 v[58:59], v[58:59], v[47:48], v[31:32]
	v_fma_f64 v[60:61], v[60:61], v[47:48], -v[33:34]
	v_fma_f64 v[62:63], v[62:63], v[134:135], v[35:36]
	v_fma_f64 v[78:79], v[78:79], v[146:147], v[106:107]
	v_fma_f64 v[80:81], v[80:81], v[146:147], -v[108:109]
	v_fma_f64 v[64:65], v[64:65], v[134:135], -v[37:38]
	v_fma_f64 v[66:67], v[66:67], v[126:127], v[94:95]
	v_fma_f64 v[68:69], v[68:69], v[126:127], -v[96:97]
	v_fma_f64 v[70:71], v[70:71], v[138:139], v[98:99]
	v_fma_f64 v[82:83], v[82:83], v[154:155], v[110:111]
	v_fma_f64 v[84:85], v[84:85], v[154:155], -v[112:113]
	v_fma_f64 v[86:87], v[86:87], v[150:151], v[114:115]
	v_fma_f64 v[88:89], v[88:89], v[150:151], -v[116:117]
	v_fma_f64 v[90:91], v[90:91], v[158:159], v[118:119]
	v_fma_f64 v[92:93], v[92:93], v[158:159], -v[120:121]
	v_fma_f64 v[72:73], v[72:73], v[138:139], -v[100:101]
	v_fma_f64 v[74:75], v[74:75], v[130:131], v[102:103]
	v_fma_f64 v[76:77], v[76:77], v[130:131], -v[104:105]
	ds_store_b128 v228, v[7:10]
	ds_store_b128 v228, v[11:14] offset:224
	ds_store_b128 v228, v[54:57] offset:448
	;; [unrolled: 1-line block ×12, first 2 shown]
	s_and_saveexec_b32 s2, vcc_lo
	s_cbranch_execz .LBB0_3
; %bb.2:
	v_mad_co_u64_u32 v[6:7], null, 0x1b0, s8, v[52:53]
	v_mad_co_u64_u32 v[10:11], null, 0x290, s8, v[52:53]
	;; [unrolled: 1-line block ×4, first 2 shown]
	s_delay_alu instid0(VALU_DEP_4) | instskip(SKIP_3) | instid1(VALU_DEP_4)
	v_mov_b32_e32 v4, v7
	v_mad_co_u64_u32 v[16:17], null, 0x450, s8, v[52:53]
	v_mov_b32_e32 v5, v11
	v_mad_co_u64_u32 v[21:22], null, 0x610, s8, v[52:53]
	v_mad_co_u64_u32 v[7:8], null, 0xd0, s9, v[3:4]
	s_delay_alu instid0(VALU_DEP_3)
	v_mad_co_u64_u32 v[8:9], null, 0x1b0, s9, v[4:5]
	v_mad_co_u64_u32 v[4:5], null, 0x290, s9, v[5:6]
	v_mov_b32_e32 v5, v15
	v_mad_co_u64_u32 v[23:24], null, 0x6f0, s8, v[52:53]
	v_mov_b32_e32 v3, v7
	v_dual_mov_b32 v7, v8 :: v_dual_mov_b32 v8, v17
	s_delay_alu instid0(VALU_DEP_4) | instskip(SKIP_2) | instid1(VALU_DEP_4)
	v_mad_co_u64_u32 v[17:18], null, 0x370, s9, v[5:6]
	v_mov_b32_e32 v11, v4
	v_mad_co_u64_u32 v[30:31], null, 0xb50, s8, v[52:53]
	v_mad_co_u64_u32 v[18:19], null, 0x450, s9, v[8:9]
	;; [unrolled: 1-line block ×3, first 2 shown]
	v_mov_b32_e32 v15, v17
	s_delay_alu instid0(VALU_DEP_2)
	v_dual_mov_b32 v17, v18 :: v_dual_mov_b32 v18, v20
	v_mov_b32_e32 v20, v22
	global_load_b128 v[2:5], v[2:3], off
	v_mad_co_u64_u32 v[25:26], null, 0x530, s9, v[18:19]
	v_mad_co_u64_u32 v[28:29], null, 0x610, s9, v[20:21]
	;; [unrolled: 1-line block ×3, first 2 shown]
	v_mov_b32_e32 v18, v24
	s_clause 0x1
	global_load_b128 v[6:9], v[6:7], off
	global_load_b128 v[10:13], v[10:11], off
	v_mov_b32_e32 v20, v25
	v_mov_b32_e32 v22, v28
	s_clause 0x1
	global_load_b128 v[54:57], v[14:15], off
	global_load_b128 v[58:61], v[16:17], off
	v_mad_co_u64_u32 v[14:15], null, 0x6f0, s9, v[18:19]
	v_mad_co_u64_u32 v[16:17], null, 0x8b0, s8, v[52:53]
	v_mov_b32_e32 v15, v27
	s_clause 0x1
	global_load_b128 v[62:65], v[19:20], off
	global_load_b128 v[66:69], v[21:22], off
	v_mov_b32_e32 v24, v14
	v_mad_co_u64_u32 v[27:28], null, 0x7d0, s9, v[15:16]
	v_mad_co_u64_u32 v[28:29], null, 0x990, s8, v[52:53]
	;; [unrolled: 1-line block ×3, first 2 shown]
	s_clause 0x1
	global_load_b128 v[70:73], v[23:24], off
	global_load_b128 v[74:77], v[26:27], off
	v_mov_b32_e32 v18, v29
	s_delay_alu instid0(VALU_DEP_1) | instskip(SKIP_3) | instid1(VALU_DEP_3)
	v_mad_co_u64_u32 v[32:33], null, 0x8b0, s9, v[17:18]
	v_mov_b32_e32 v17, v31
	v_mad_co_u64_u32 v[33:34], null, 0x990, s9, v[18:19]
	v_mad_co_u64_u32 v[34:35], null, 0xa70, s9, v[15:16]
	;; [unrolled: 1-line block ×3, first 2 shown]
	v_mov_b32_e32 v17, v32
	s_delay_alu instid0(VALU_DEP_4) | instskip(NEXT) | instid1(VALU_DEP_4)
	v_mov_b32_e32 v29, v33
	v_mov_b32_e32 v15, v34
	global_load_b128 v[78:81], v[16:17], off
	v_mov_b32_e32 v31, v18
	s_clause 0x2
	global_load_b128 v[82:85], v[28:29], off
	global_load_b128 v[86:89], v[14:15], off
	;; [unrolled: 1-line block ×3, first 2 shown]
	s_clause 0xc
	s_load_b128 s[60:63], s[34:35], 0xd0
	s_load_b128 s[56:59], s[34:35], 0x1b0
	;; [unrolled: 1-line block ×13, first 2 shown]
	s_wait_loadcnt 0xc
	s_wait_kmcnt 0x0
	v_mul_f64_e32 v[14:15], s[62:63], v[4:5]
	v_mul_f64_e32 v[16:17], s[62:63], v[2:3]
	s_wait_loadcnt 0xb
	v_mul_f64_e32 v[18:19], s[58:59], v[8:9]
	v_mul_f64_e32 v[20:21], s[58:59], v[6:7]
	s_wait_loadcnt 0xa
	;; [unrolled: 3-line block ×8, first 2 shown]
	v_mul_f64_e32 v[100:101], s[22:23], v[76:77]
	v_mul_f64_e32 v[102:103], s[22:23], v[74:75]
	v_fma_f64 v[2:3], v[2:3], s[60:61], v[14:15]
	v_fma_f64 v[4:5], v[4:5], s[60:61], -v[16:17]
	v_fma_f64 v[6:7], v[6:7], s[56:57], v[18:19]
	v_fma_f64 v[8:9], v[8:9], s[56:57], -v[20:21]
	;; [unrolled: 2-line block ×4, first 2 shown]
	v_fma_f64 v[56:57], v[58:59], s[40:41], v[30:31]
	s_wait_loadcnt 0x3
	v_mul_f64_e32 v[104:105], s[18:19], v[80:81]
	v_mul_f64_e32 v[106:107], s[18:19], v[78:79]
	s_wait_loadcnt 0x2
	v_mul_f64_e32 v[108:109], s[14:15], v[84:85]
	v_mul_f64_e32 v[110:111], s[14:15], v[82:83]
	s_wait_loadcnt 0x1
	v_mul_f64_e32 v[112:113], s[10:11], v[88:89]
	v_mul_f64_e32 v[114:115], s[10:11], v[86:87]
	s_wait_loadcnt 0x0
	v_mul_f64_e32 v[116:117], s[46:47], v[92:93]
	v_mul_f64_e32 v[118:119], s[46:47], v[90:91]
	v_fma_f64 v[58:59], v[60:61], s[40:41], -v[32:33]
	v_fma_f64 v[60:61], v[62:63], s[36:37], v[34:35]
	v_fma_f64 v[62:63], v[64:65], s[36:37], -v[36:37]
	v_fma_f64 v[64:65], v[66:67], s[28:29], v[38:39]
	;; [unrolled: 2-line block ×8, first 2 shown]
	v_fma_f64 v[90:91], v[92:93], s[44:45], -v[118:119]
	ds_store_b128 v255, v[2:5] offset:208
	ds_store_b128 v255, v[6:9] offset:432
	ds_store_b128 v255, v[10:13] offset:656
	ds_store_b128 v255, v[52:55] offset:880
	ds_store_b128 v255, v[56:59] offset:1104
	ds_store_b128 v255, v[60:63] offset:1328
	ds_store_b128 v255, v[64:67] offset:1552
	ds_store_b128 v255, v[68:71] offset:1776
	ds_store_b128 v255, v[72:75] offset:2000
	ds_store_b128 v255, v[76:79] offset:2224
	ds_store_b128 v255, v[80:83] offset:2448
	ds_store_b128 v255, v[84:87] offset:2672
	ds_store_b128 v255, v[88:91] offset:2896
.LBB0_3:
	s_wait_alu 0xfffe
	s_or_b32 exec_lo, exec_lo, s2
	global_wb scope:SCOPE_SE
	s_wait_storecnt_dscnt 0x0
	s_wait_kmcnt 0x0
	s_barrier_signal -1
	s_barrier_wait -1
	global_inv scope:SCOPE_SE
	ds_load_b128 v[52:55], v228
	ds_load_b128 v[60:63], v228 offset:224
	ds_load_b128 v[76:79], v228 offset:448
	;; [unrolled: 1-line block ×12, first 2 shown]
	s_load_b64 s[0:1], s[0:1], 0x8
	v_add_co_u32 v188, s2, s34, v0
	s_wait_alu 0xf1ff
	v_add_co_ci_u32_e64 v189, null, s35, 0, s2
                                        ; implicit-def: $vgpr64_vgpr65
                                        ; implicit-def: $vgpr68_vgpr69
                                        ; implicit-def: $vgpr92_vgpr93
                                        ; implicit-def: $vgpr96_vgpr97
                                        ; implicit-def: $vgpr100_vgpr101
                                        ; implicit-def: $vgpr104_vgpr105
                                        ; implicit-def: $vgpr108_vgpr109
                                        ; implicit-def: $vgpr120_vgpr121
                                        ; implicit-def: $vgpr132_vgpr133
                                        ; implicit-def: $vgpr136_vgpr137
                                        ; implicit-def: $vgpr140_vgpr141
                                        ; implicit-def: $vgpr144_vgpr145
                                        ; implicit-def: $vgpr148_vgpr149
	s_and_saveexec_b32 s2, vcc_lo
	s_cbranch_execz .LBB0_5
; %bb.4:
	ds_load_b128 v[64:67], v255 offset:208
	ds_load_b128 v[68:71], v255 offset:432
	;; [unrolled: 1-line block ×13, first 2 shown]
.LBB0_5:
	s_wait_alu 0xfffe
	s_or_b32 exec_lo, exec_lo, s2
	s_wait_dscnt 0xb
	v_add_f64_e32 v[2:3], v[52:53], v[60:61]
	v_add_f64_e32 v[4:5], v[54:55], v[62:63]
	s_wait_dscnt 0x0
	v_add_f64_e64 v[6:7], v[62:63], -v[58:59]
	v_add_f64_e64 v[12:13], v[60:61], -v[56:57]
	s_mov_b32 s38, 0x4267c47c
	s_mov_b32 s24, 0x42a4c3d2
	;; [unrolled: 1-line block ×12, first 2 shown]
	v_add_f64_e32 v[190:191], v[152:153], v[128:129]
	v_add_f64_e32 v[192:193], v[154:155], v[130:131]
	v_add_f64_e64 v[194:195], v[152:153], -v[128:129]
	v_add_f64_e64 v[196:197], v[154:155], -v[130:131]
	v_add_f64_e32 v[8:9], v[60:61], v[56:57]
	v_add_f64_e32 v[10:11], v[62:63], v[58:59]
	s_mov_b32 s14, 0xe00740e9
	s_mov_b32 s10, 0x1ea71119
	;; [unrolled: 1-line block ×13, first 2 shown]
	s_wait_alu 0xfffe
	s_mov_b32 s36, s20
	s_mov_b32 s29, 0x3fefc445
	;; [unrolled: 1-line block ×3, first 2 shown]
	v_add_f64_e32 v[2:3], v[2:3], v[76:77]
	v_add_f64_e32 v[4:5], v[4:5], v[78:79]
	v_mul_f64_e32 v[14:15], s[26:27], v[6:7]
	v_mul_f64_e32 v[16:17], s[16:17], v[6:7]
	;; [unrolled: 1-line block ×7, first 2 shown]
	s_mov_b32 s31, 0x3fddbe06
	s_mov_b32 s30, s38
	;; [unrolled: 1-line block ×8, first 2 shown]
	v_add_f64_e32 v[202:203], v[102:103], v[138:139]
	v_add_f64_e64 v[204:205], v[106:107], -v[134:135]
	v_add_f64_e32 v[206:207], v[104:105], v[132:133]
	v_add_f64_e64 v[208:209], v[104:105], -v[132:133]
	;; [unrolled: 2-line block ×3, first 2 shown]
	v_add_f64_e32 v[214:215], v[108:109], v[120:121]
	v_add_f64_e32 v[216:217], v[110:111], v[122:123]
	;; [unrolled: 1-line block ×4, first 2 shown]
	v_fma_f64 v[24:25], v[8:9], s[2:3], -v[14:15]
	v_fma_f64 v[14:15], v[8:9], s[2:3], v[14:15]
	v_fma_f64 v[26:27], v[8:9], s[8:9], -v[16:17]
	v_fma_f64 v[16:17], v[8:9], s[8:9], v[16:17]
	v_fma_f64 v[28:29], v[8:9], s[12:13], -v[18:19]
	v_fma_f64 v[18:19], v[8:9], s[12:13], v[18:19]
	v_fma_f64 v[62:63], v[10:11], s[8:9], v[36:37]
	v_fma_f64 v[60:61], v[10:11], s[2:3], v[34:35]
	v_fma_f64 v[34:35], v[10:11], s[2:3], -v[34:35]
	v_fma_f64 v[36:37], v[10:11], s[8:9], -v[36:37]
	s_wait_alu 0xfffe
	v_mul_f64_e32 v[224:225], s[30:31], v[204:205]
	v_mul_f64_e32 v[218:219], s[44:45], v[208:209]
	;; [unrolled: 1-line block ×5, first 2 shown]
	v_add_f64_e32 v[2:3], v[2:3], v[112:113]
	v_add_f64_e32 v[4:5], v[4:5], v[114:115]
	;; [unrolled: 1-line block ×13, first 2 shown]
	s_delay_alu instid0(VALU_DEP_2) | instskip(NEXT) | instid1(VALU_DEP_2)
	v_add_f64_e32 v[2:3], v[2:3], v[152:153]
	v_add_f64_e32 v[4:5], v[4:5], v[154:155]
	s_delay_alu instid0(VALU_DEP_2) | instskip(NEXT) | instid1(VALU_DEP_2)
	v_add_f64_e32 v[2:3], v[2:3], v[128:129]
	v_add_f64_e32 v[4:5], v[4:5], v[130:131]
	v_add_f64_e32 v[130:131], v[126:127], v[118:119]
	v_add_f64_e64 v[126:127], v[126:127], -v[118:119]
	v_add_f64_e32 v[128:129], v[124:125], v[116:117]
	v_add_f64_e64 v[124:125], v[124:125], -v[116:117]
	v_add_f64_e32 v[2:3], v[2:3], v[116:117]
	v_add_f64_e32 v[4:5], v[4:5], v[118:119]
	v_add_f64_e32 v[118:119], v[114:115], v[90:91]
	v_add_f64_e64 v[114:115], v[114:115], -v[90:91]
	v_add_f64_e32 v[116:117], v[112:113], v[88:89]
	v_add_f64_e64 v[112:113], v[112:113], -v[88:89]
	;; [unrolled: 6-line block ×4, first 2 shown]
	v_mul_f64_e32 v[18:19], s[26:27], v[86:87]
	v_add_f64_e32 v[2:3], v[2:3], v[72:73]
	v_add_f64_e32 v[4:5], v[4:5], v[74:75]
	v_fma_f64 v[72:73], v[10:11], s[12:13], v[38:39]
	v_fma_f64 v[38:39], v[10:11], s[12:13], -v[38:39]
	v_add_f64_e32 v[74:75], v[52:53], v[28:29]
	v_add_f64_e32 v[152:153], v[2:3], v[56:57]
	;; [unrolled: 1-line block ×3, first 2 shown]
	v_mul_f64_e32 v[2:3], s[38:39], v[6:7]
	v_mul_f64_e32 v[4:5], s[24:25], v[6:7]
	;; [unrolled: 1-line block ×3, first 2 shown]
	v_fma_f64 v[58:59], v[10:11], s[10:11], v[32:33]
	v_fma_f64 v[32:33], v[10:11], s[10:11], -v[32:33]
	v_add_f64_e32 v[72:73], v[54:55], v[72:73]
	v_add_f64_e32 v[60:61], v[54:55], v[38:39]
	v_fma_f64 v[20:21], v[8:9], s[14:15], -v[2:3]
	v_fma_f64 v[2:3], v[8:9], s[14:15], v[2:3]
	v_fma_f64 v[22:23], v[8:9], s[10:11], -v[4:5]
	v_fma_f64 v[4:5], v[8:9], s[10:11], v[4:5]
	;; [unrolled: 2-line block ×3, first 2 shown]
	v_mul_f64_e32 v[8:9], s[38:39], v[12:13]
	v_mul_f64_e32 v[12:13], s[22:23], v[12:13]
	v_add_f64_e32 v[164:165], v[54:55], v[58:59]
	v_add_f64_e32 v[32:33], v[54:55], v[32:33]
	v_add_f64_e32 v[2:3], v[52:53], v[2:3]
	v_add_f64_e32 v[22:23], v[52:53], v[22:23]
	v_add_f64_e32 v[4:5], v[52:53], v[4:5]
	v_add_f64_e32 v[58:59], v[52:53], v[30:31]
	v_fma_f64 v[56:57], v[10:11], s[14:15], v[8:9]
	v_fma_f64 v[8:9], v[10:11], s[14:15], -v[8:9]
	v_fma_f64 v[156:157], v[10:11], s[18:19], v[12:13]
	v_fma_f64 v[10:11], v[10:11], s[18:19], -v[12:13]
	v_add_f64_e32 v[12:13], v[52:53], v[20:21]
	v_add_f64_e32 v[52:53], v[52:53], v[6:7]
	v_mul_f64_e32 v[6:7], s[24:25], v[78:79]
	v_add_f64_e32 v[20:21], v[54:55], v[56:57]
	v_add_f64_e32 v[8:9], v[54:55], v[8:9]
	;; [unrolled: 1-line block ×4, first 2 shown]
	v_fma_f64 v[10:11], v[80:81], s[10:11], -v[6:7]
	v_fma_f64 v[6:7], v[80:81], s[10:11], v[6:7]
	s_delay_alu instid0(VALU_DEP_2) | instskip(SKIP_1) | instid1(VALU_DEP_3)
	v_add_f64_e32 v[10:11], v[10:11], v[12:13]
	v_mul_f64_e32 v[12:13], s[24:25], v[76:77]
	v_add_f64_e32 v[2:3], v[6:7], v[2:3]
	s_delay_alu instid0(VALU_DEP_2) | instskip(SKIP_2) | instid1(VALU_DEP_3)
	v_fma_f64 v[16:17], v[82:83], s[10:11], v[12:13]
	v_fma_f64 v[6:7], v[82:83], s[10:11], -v[12:13]
	v_mul_f64_e32 v[12:13], s[22:23], v[86:87]
	v_add_f64_e32 v[16:17], v[16:17], v[20:21]
	v_fma_f64 v[20:21], v[88:89], s[2:3], -v[18:19]
	s_delay_alu instid0(VALU_DEP_4) | instskip(SKIP_1) | instid1(VALU_DEP_3)
	v_add_f64_e32 v[6:7], v[6:7], v[8:9]
	v_fma_f64 v[8:9], v[88:89], s[2:3], v[18:19]
	v_add_f64_e32 v[10:11], v[20:21], v[10:11]
	v_mul_f64_e32 v[20:21], s[26:27], v[84:85]
	s_delay_alu instid0(VALU_DEP_3) | instskip(NEXT) | instid1(VALU_DEP_2)
	v_add_f64_e32 v[2:3], v[8:9], v[2:3]
	v_fma_f64 v[26:27], v[90:91], s[2:3], v[20:21]
	v_fma_f64 v[8:9], v[90:91], s[2:3], -v[20:21]
	s_delay_alu instid0(VALU_DEP_2) | instskip(SKIP_1) | instid1(VALU_DEP_3)
	v_add_f64_e32 v[16:17], v[26:27], v[16:17]
	v_mul_f64_e32 v[26:27], s[16:17], v[114:115]
	v_add_f64_e32 v[6:7], v[8:9], v[6:7]
	s_delay_alu instid0(VALU_DEP_2) | instskip(SKIP_1) | instid1(VALU_DEP_2)
	v_fma_f64 v[28:29], v[116:117], s[8:9], -v[26:27]
	v_fma_f64 v[8:9], v[116:117], s[8:9], v[26:27]
	v_add_f64_e32 v[10:11], v[28:29], v[10:11]
	v_mul_f64_e32 v[28:29], s[16:17], v[112:113]
	s_delay_alu instid0(VALU_DEP_3) | instskip(NEXT) | instid1(VALU_DEP_2)
	v_add_f64_e32 v[2:3], v[8:9], v[2:3]
	v_fma_f64 v[30:31], v[118:119], s[8:9], v[28:29]
	v_fma_f64 v[8:9], v[118:119], s[8:9], -v[28:29]
	s_delay_alu instid0(VALU_DEP_2) | instskip(SKIP_1) | instid1(VALU_DEP_3)
	v_add_f64_e32 v[16:17], v[30:31], v[16:17]
	v_mul_f64_e32 v[30:31], s[20:21], v[126:127]
	v_add_f64_e32 v[6:7], v[8:9], v[6:7]
	s_delay_alu instid0(VALU_DEP_2) | instskip(SKIP_1) | instid1(VALU_DEP_2)
	v_fma_f64 v[36:37], v[128:129], s[12:13], -v[30:31]
	;; [unrolled: 13-line block ×3, first 2 shown]
	v_fma_f64 v[8:9], v[190:191], s[18:19], v[38:39]
	v_add_f64_e32 v[160:161], v[156:157], v[10:11]
	v_mul_f64_e32 v[10:11], s[22:23], v[194:195]
	s_delay_alu instid0(VALU_DEP_1) | instskip(SKIP_1) | instid1(VALU_DEP_2)
	v_fma_f64 v[156:157], v[192:193], s[18:19], v[10:11]
	v_fma_f64 v[10:11], v[192:193], s[18:19], -v[10:11]
	v_add_f64_e32 v[162:163], v[156:157], v[16:17]
	v_add_f64_e32 v[156:157], v[8:9], v[2:3]
	v_mul_f64_e32 v[2:3], s[16:17], v[78:79]
	s_delay_alu instid0(VALU_DEP_4) | instskip(SKIP_2) | instid1(VALU_DEP_4)
	v_add_f64_e32 v[158:159], v[10:11], v[6:7]
	v_mul_f64_e32 v[8:9], s[16:17], v[76:77]
	v_fma_f64 v[16:17], v[88:89], s[18:19], -v[12:13]
	v_fma_f64 v[6:7], v[80:81], s[8:9], -v[2:3]
	v_fma_f64 v[2:3], v[80:81], s[8:9], v[2:3]
	s_delay_alu instid0(VALU_DEP_4) | instskip(NEXT) | instid1(VALU_DEP_3)
	v_fma_f64 v[10:11], v[82:83], s[8:9], v[8:9]
	v_add_f64_e32 v[6:7], v[6:7], v[22:23]
	s_delay_alu instid0(VALU_DEP_3) | instskip(NEXT) | instid1(VALU_DEP_3)
	v_add_f64_e32 v[2:3], v[2:3], v[4:5]
	v_add_f64_e32 v[10:11], v[10:11], v[164:165]
	v_fma_f64 v[4:5], v[82:83], s[8:9], -v[8:9]
	v_fma_f64 v[8:9], v[88:89], s[18:19], v[12:13]
	v_add_f64_e32 v[6:7], v[16:17], v[6:7]
	v_mul_f64_e32 v[16:17], s[22:23], v[84:85]
	s_delay_alu instid0(VALU_DEP_4) | instskip(NEXT) | instid1(VALU_DEP_4)
	v_add_f64_e32 v[4:5], v[4:5], v[32:33]
	v_add_f64_e32 v[2:3], v[8:9], v[2:3]
	v_mul_f64_e32 v[32:33], s[28:29], v[194:195]
	s_delay_alu instid0(VALU_DEP_4) | instskip(SKIP_1) | instid1(VALU_DEP_2)
	v_fma_f64 v[18:19], v[90:91], s[18:19], v[16:17]
	v_fma_f64 v[8:9], v[90:91], s[18:19], -v[16:17]
	v_add_f64_e32 v[10:11], v[18:19], v[10:11]
	v_mul_f64_e32 v[18:19], s[36:37], v[114:115]
	s_delay_alu instid0(VALU_DEP_3) | instskip(NEXT) | instid1(VALU_DEP_2)
	v_add_f64_e32 v[4:5], v[8:9], v[4:5]
	v_fma_f64 v[20:21], v[116:117], s[12:13], -v[18:19]
	v_fma_f64 v[8:9], v[116:117], s[12:13], v[18:19]
	s_delay_alu instid0(VALU_DEP_2) | instskip(SKIP_1) | instid1(VALU_DEP_3)
	v_add_f64_e32 v[6:7], v[20:21], v[6:7]
	v_mul_f64_e32 v[20:21], s[36:37], v[112:113]
	v_add_f64_e32 v[2:3], v[8:9], v[2:3]
	s_delay_alu instid0(VALU_DEP_2) | instskip(SKIP_1) | instid1(VALU_DEP_2)
	v_fma_f64 v[22:23], v[118:119], s[12:13], v[20:21]
	v_fma_f64 v[8:9], v[118:119], s[12:13], -v[20:21]
	v_add_f64_e32 v[10:11], v[22:23], v[10:11]
	v_mul_f64_e32 v[22:23], s[28:29], v[126:127]
	s_delay_alu instid0(VALU_DEP_3) | instskip(NEXT) | instid1(VALU_DEP_2)
	v_add_f64_e32 v[4:5], v[8:9], v[4:5]
	v_fma_f64 v[26:27], v[128:129], s[2:3], -v[22:23]
	v_fma_f64 v[8:9], v[128:129], s[2:3], v[22:23]
	s_delay_alu instid0(VALU_DEP_2) | instskip(SKIP_1) | instid1(VALU_DEP_3)
	v_add_f64_e32 v[6:7], v[26:27], v[6:7]
	v_mul_f64_e32 v[26:27], s[28:29], v[124:125]
	v_add_f64_e32 v[2:3], v[8:9], v[2:3]
	s_delay_alu instid0(VALU_DEP_2) | instskip(SKIP_1) | instid1(VALU_DEP_2)
	v_fma_f64 v[28:29], v[130:131], s[2:3], v[26:27]
	v_fma_f64 v[8:9], v[130:131], s[2:3], -v[26:27]
	v_add_f64_e32 v[10:11], v[28:29], v[10:11]
	v_mul_f64_e32 v[28:29], s[30:31], v[196:197]
	s_delay_alu instid0(VALU_DEP_3) | instskip(NEXT) | instid1(VALU_DEP_2)
	v_add_f64_e32 v[4:5], v[8:9], v[4:5]
	v_fma_f64 v[30:31], v[190:191], s[14:15], -v[28:29]
	v_fma_f64 v[8:9], v[190:191], s[14:15], v[28:29]
	s_delay_alu instid0(VALU_DEP_2) | instskip(SKIP_1) | instid1(VALU_DEP_3)
	v_add_f64_e32 v[168:169], v[30:31], v[6:7]
	v_mul_f64_e32 v[6:7], s[30:31], v[194:195]
	v_add_f64_e32 v[164:165], v[8:9], v[2:3]
	v_mul_f64_e32 v[2:3], s[22:23], v[78:79]
	s_delay_alu instid0(VALU_DEP_3) | instskip(SKIP_1) | instid1(VALU_DEP_2)
	v_fma_f64 v[30:31], v[192:193], s[14:15], v[6:7]
	v_fma_f64 v[6:7], v[192:193], s[14:15], -v[6:7]
	v_add_f64_e32 v[170:171], v[30:31], v[10:11]
	s_delay_alu instid0(VALU_DEP_2) | instskip(SKIP_4) | instid1(VALU_DEP_4)
	v_add_f64_e32 v[166:167], v[6:7], v[4:5]
	v_fma_f64 v[4:5], v[80:81], s[18:19], -v[2:3]
	v_mul_f64_e32 v[10:11], s[40:41], v[86:87]
	v_mul_f64_e32 v[6:7], s[22:23], v[76:77]
	v_fma_f64 v[2:3], v[80:81], s[18:19], v[2:3]
	v_add_f64_e32 v[4:5], v[4:5], v[24:25]
	s_delay_alu instid0(VALU_DEP_4) | instskip(NEXT) | instid1(VALU_DEP_4)
	v_fma_f64 v[12:13], v[88:89], s[8:9], -v[10:11]
	v_fma_f64 v[8:9], v[82:83], s[18:19], v[6:7]
	s_delay_alu instid0(VALU_DEP_4) | instskip(SKIP_1) | instid1(VALU_DEP_4)
	v_add_f64_e32 v[2:3], v[2:3], v[14:15]
	v_fma_f64 v[6:7], v[82:83], s[18:19], -v[6:7]
	v_add_f64_e32 v[4:5], v[12:13], v[4:5]
	v_mul_f64_e32 v[12:13], s[40:41], v[84:85]
	v_add_f64_e32 v[8:9], v[8:9], v[172:173]
	s_delay_alu instid0(VALU_DEP_4) | instskip(NEXT) | instid1(VALU_DEP_3)
	v_add_f64_e32 v[6:7], v[6:7], v[34:35]
	v_fma_f64 v[16:17], v[90:91], s[8:9], v[12:13]
	s_delay_alu instid0(VALU_DEP_1) | instskip(SKIP_1) | instid1(VALU_DEP_1)
	v_add_f64_e32 v[8:9], v[16:17], v[8:9]
	v_mul_f64_e32 v[16:17], s[30:31], v[114:115]
	v_fma_f64 v[18:19], v[116:117], s[14:15], -v[16:17]
	s_delay_alu instid0(VALU_DEP_1) | instskip(SKIP_1) | instid1(VALU_DEP_1)
	v_add_f64_e32 v[4:5], v[18:19], v[4:5]
	v_mul_f64_e32 v[18:19], s[30:31], v[112:113]
	v_fma_f64 v[20:21], v[118:119], s[14:15], v[18:19]
	s_delay_alu instid0(VALU_DEP_1) | instskip(SKIP_1) | instid1(VALU_DEP_1)
	v_add_f64_e32 v[8:9], v[20:21], v[8:9]
	v_mul_f64_e32 v[20:21], s[24:25], v[126:127]
	v_fma_f64 v[22:23], v[128:129], s[10:11], -v[20:21]
	s_delay_alu instid0(VALU_DEP_1) | instskip(SKIP_1) | instid1(VALU_DEP_1)
	v_add_f64_e32 v[4:5], v[22:23], v[4:5]
	v_mul_f64_e32 v[22:23], s[24:25], v[124:125]
	v_fma_f64 v[24:25], v[130:131], s[10:11], v[22:23]
	s_delay_alu instid0(VALU_DEP_1) | instskip(SKIP_1) | instid1(VALU_DEP_1)
	v_add_f64_e32 v[8:9], v[24:25], v[8:9]
	v_mul_f64_e32 v[24:25], s[20:21], v[196:197]
	v_fma_f64 v[26:27], v[190:191], s[12:13], -v[24:25]
	v_fma_f64 v[198:199], v[190:191], s[12:13], v[24:25]
	s_delay_alu instid0(VALU_DEP_2) | instskip(SKIP_1) | instid1(VALU_DEP_1)
	v_add_f64_e32 v[172:173], v[26:27], v[4:5]
	v_mul_f64_e32 v[4:5], s[20:21], v[194:195]
	v_fma_f64 v[26:27], v[192:193], s[12:13], v[4:5]
	v_fma_f64 v[200:201], v[192:193], s[12:13], -v[4:5]
	s_delay_alu instid0(VALU_DEP_2) | instskip(SKIP_2) | instid1(VALU_DEP_2)
	v_add_f64_e32 v[174:175], v[26:27], v[8:9]
	v_fma_f64 v[8:9], v[88:89], s[8:9], v[10:11]
	v_mul_f64_e32 v[10:11], s[30:31], v[86:87]
	v_add_f64_e32 v[2:3], v[8:9], v[2:3]
	v_fma_f64 v[8:9], v[90:91], s[8:9], -v[12:13]
	s_delay_alu instid0(VALU_DEP_3) | instskip(NEXT) | instid1(VALU_DEP_2)
	v_fma_f64 v[12:13], v[88:89], s[14:15], -v[10:11]
	v_add_f64_e32 v[6:7], v[8:9], v[6:7]
	v_fma_f64 v[8:9], v[116:117], s[14:15], v[16:17]
	s_delay_alu instid0(VALU_DEP_1) | instskip(SKIP_1) | instid1(VALU_DEP_1)
	v_add_f64_e32 v[2:3], v[8:9], v[2:3]
	v_fma_f64 v[8:9], v[118:119], s[14:15], -v[18:19]
	v_add_f64_e32 v[6:7], v[8:9], v[6:7]
	v_fma_f64 v[8:9], v[128:129], s[10:11], v[20:21]
	s_delay_alu instid0(VALU_DEP_1) | instskip(SKIP_1) | instid1(VALU_DEP_2)
	v_add_f64_e32 v[176:177], v[8:9], v[2:3]
	v_fma_f64 v[2:3], v[130:131], s[10:11], -v[22:23]
	v_add_f64_e32 v[176:177], v[198:199], v[176:177]
	s_delay_alu instid0(VALU_DEP_2) | instskip(SKIP_3) | instid1(VALU_DEP_4)
	v_add_f64_e32 v[178:179], v[2:3], v[6:7]
	v_mul_f64_e32 v[2:3], s[36:37], v[78:79]
	v_mul_f64_e32 v[6:7], s[36:37], v[76:77]
	v_add_f64_e32 v[198:199], v[98:99], v[142:143]
	v_add_f64_e32 v[178:179], v[200:201], v[178:179]
	s_delay_alu instid0(VALU_DEP_4) | instskip(NEXT) | instid1(VALU_DEP_4)
	v_fma_f64 v[4:5], v[80:81], s[12:13], -v[2:3]
	v_fma_f64 v[8:9], v[82:83], s[12:13], v[6:7]
	v_fma_f64 v[2:3], v[80:81], s[12:13], v[2:3]
	v_fma_f64 v[6:7], v[82:83], s[12:13], -v[6:7]
	v_add_f64_e32 v[200:201], v[100:101], v[136:137]
	v_add_f64_e32 v[4:5], v[4:5], v[186:187]
	;; [unrolled: 1-line block ×5, first 2 shown]
	s_delay_alu instid0(VALU_DEP_4) | instskip(SKIP_1) | instid1(VALU_DEP_1)
	v_add_f64_e32 v[4:5], v[12:13], v[4:5]
	v_mul_f64_e32 v[12:13], s[30:31], v[84:85]
	v_fma_f64 v[14:15], v[90:91], s[14:15], v[12:13]
	s_delay_alu instid0(VALU_DEP_1) | instskip(SKIP_1) | instid1(VALU_DEP_1)
	v_add_f64_e32 v[8:9], v[14:15], v[8:9]
	v_mul_f64_e32 v[14:15], s[26:27], v[114:115]
	v_fma_f64 v[16:17], v[116:117], s[2:3], -v[14:15]
	s_delay_alu instid0(VALU_DEP_1) | instskip(SKIP_1) | instid1(VALU_DEP_1)
	v_add_f64_e32 v[4:5], v[16:17], v[4:5]
	v_mul_f64_e32 v[16:17], s[26:27], v[112:113]
	v_fma_f64 v[18:19], v[118:119], s[2:3], v[16:17]
	s_delay_alu instid0(VALU_DEP_1) | instskip(SKIP_1) | instid1(VALU_DEP_1)
	v_add_f64_e32 v[8:9], v[18:19], v[8:9]
	v_mul_f64_e32 v[18:19], s[44:45], v[126:127]
	v_fma_f64 v[20:21], v[128:129], s[18:19], -v[18:19]
	s_delay_alu instid0(VALU_DEP_1) | instskip(SKIP_1) | instid1(VALU_DEP_1)
	;; [unrolled: 8-line block ×3, first 2 shown]
	v_add_f64_e32 v[184:185], v[24:25], v[4:5]
	v_mul_f64_e32 v[4:5], s[42:43], v[194:195]
	v_fma_f64 v[24:25], v[192:193], s[10:11], v[4:5]
	v_fma_f64 v[4:5], v[192:193], s[10:11], -v[4:5]
	s_delay_alu instid0(VALU_DEP_2) | instskip(SKIP_2) | instid1(VALU_DEP_2)
	v_add_f64_e32 v[186:187], v[24:25], v[8:9]
	v_fma_f64 v[8:9], v[88:89], s[14:15], v[10:11]
	v_mul_f64_e32 v[10:11], s[24:25], v[86:87]
	v_add_f64_e32 v[2:3], v[8:9], v[2:3]
	v_fma_f64 v[8:9], v[90:91], s[14:15], -v[12:13]
	s_delay_alu instid0(VALU_DEP_3) | instskip(SKIP_1) | instid1(VALU_DEP_3)
	v_fma_f64 v[12:13], v[88:89], s[10:11], -v[10:11]
	v_fma_f64 v[10:11], v[88:89], s[10:11], v[10:11]
	v_add_f64_e32 v[6:7], v[8:9], v[6:7]
	v_fma_f64 v[8:9], v[116:117], s[2:3], v[14:15]
	s_delay_alu instid0(VALU_DEP_1) | instskip(SKIP_1) | instid1(VALU_DEP_1)
	v_add_f64_e32 v[2:3], v[8:9], v[2:3]
	v_fma_f64 v[8:9], v[118:119], s[2:3], -v[16:17]
	v_add_f64_e32 v[6:7], v[8:9], v[6:7]
	v_fma_f64 v[8:9], v[128:129], s[18:19], v[18:19]
	s_delay_alu instid0(VALU_DEP_1) | instskip(SKIP_1) | instid1(VALU_DEP_1)
	v_add_f64_e32 v[2:3], v[8:9], v[2:3]
	v_fma_f64 v[8:9], v[130:131], s[18:19], -v[20:21]
	v_add_f64_e32 v[6:7], v[8:9], v[6:7]
	v_fma_f64 v[8:9], v[190:191], s[10:11], v[22:23]
	s_delay_alu instid0(VALU_DEP_2) | instskip(SKIP_1) | instid1(VALU_DEP_3)
	v_add_f64_e32 v[182:183], v[4:5], v[6:7]
	v_mul_f64_e32 v[6:7], s[28:29], v[78:79]
	v_add_f64_e32 v[180:181], v[8:9], v[2:3]
	v_mul_f64_e32 v[8:9], s[28:29], v[76:77]
	s_delay_alu instid0(VALU_DEP_3) | instskip(SKIP_1) | instid1(VALU_DEP_3)
	v_fma_f64 v[2:3], v[80:81], s[2:3], -v[6:7]
	v_fma_f64 v[6:7], v[80:81], s[2:3], v[6:7]
	v_fma_f64 v[4:5], v[82:83], s[2:3], v[8:9]
	v_fma_f64 v[8:9], v[82:83], s[2:3], -v[8:9]
	s_delay_alu instid0(VALU_DEP_4) | instskip(NEXT) | instid1(VALU_DEP_4)
	v_add_f64_e32 v[2:3], v[2:3], v[74:75]
	v_add_f64_e32 v[6:7], v[6:7], v[62:63]
	s_delay_alu instid0(VALU_DEP_4) | instskip(NEXT) | instid1(VALU_DEP_4)
	v_add_f64_e32 v[4:5], v[4:5], v[72:73]
	v_add_f64_e32 v[8:9], v[8:9], v[60:61]
	v_mul_f64_e32 v[72:73], s[20:21], v[204:205]
	v_mul_f64_e32 v[74:75], s[20:21], v[208:209]
	v_add_f64_e32 v[2:3], v[12:13], v[2:3]
	v_mul_f64_e32 v[12:13], s[24:25], v[84:85]
	v_add_f64_e32 v[6:7], v[10:11], v[6:7]
	s_delay_alu instid0(VALU_DEP_2) | instskip(SKIP_1) | instid1(VALU_DEP_2)
	v_fma_f64 v[14:15], v[90:91], s[10:11], v[12:13]
	v_fma_f64 v[10:11], v[90:91], s[10:11], -v[12:13]
	v_add_f64_e32 v[4:5], v[14:15], v[4:5]
	v_mul_f64_e32 v[14:15], s[44:45], v[114:115]
	s_delay_alu instid0(VALU_DEP_3) | instskip(NEXT) | instid1(VALU_DEP_2)
	v_add_f64_e32 v[8:9], v[10:11], v[8:9]
	v_fma_f64 v[16:17], v[116:117], s[18:19], -v[14:15]
	v_fma_f64 v[10:11], v[116:117], s[18:19], v[14:15]
	v_mul_f64_e32 v[14:15], s[30:31], v[76:77]
	v_mul_f64_e32 v[76:77], s[22:23], v[212:213]
	s_delay_alu instid0(VALU_DEP_4) | instskip(SKIP_2) | instid1(VALU_DEP_2)
	v_add_f64_e32 v[2:3], v[16:17], v[2:3]
	v_mul_f64_e32 v[16:17], s[44:45], v[112:113]
	v_add_f64_e32 v[6:7], v[10:11], v[6:7]
	v_fma_f64 v[18:19], v[118:119], s[18:19], v[16:17]
	v_fma_f64 v[10:11], v[118:119], s[18:19], -v[16:17]
	v_fma_f64 v[16:17], v[82:83], s[14:15], v[14:15]
	s_delay_alu instid0(VALU_DEP_3) | instskip(SKIP_1) | instid1(VALU_DEP_4)
	v_add_f64_e32 v[4:5], v[18:19], v[4:5]
	v_mul_f64_e32 v[18:19], s[30:31], v[126:127]
	v_add_f64_e32 v[8:9], v[10:11], v[8:9]
	s_delay_alu instid0(VALU_DEP_4) | instskip(NEXT) | instid1(VALU_DEP_3)
	v_add_f64_e32 v[16:17], v[16:17], v[56:57]
	v_fma_f64 v[20:21], v[128:129], s[14:15], -v[18:19]
	v_fma_f64 v[10:11], v[128:129], s[14:15], v[18:19]
	v_mul_f64_e32 v[18:19], s[20:21], v[86:87]
	v_mul_f64_e32 v[86:87], s[30:31], v[212:213]
	s_delay_alu instid0(VALU_DEP_4) | instskip(SKIP_2) | instid1(VALU_DEP_2)
	v_add_f64_e32 v[2:3], v[20:21], v[2:3]
	v_mul_f64_e32 v[20:21], s[30:31], v[124:125]
	v_add_f64_e32 v[6:7], v[10:11], v[6:7]
	v_fma_f64 v[22:23], v[130:131], s[14:15], v[20:21]
	v_fma_f64 v[10:11], v[130:131], s[14:15], -v[20:21]
	v_fma_f64 v[20:21], v[88:89], s[12:13], -v[18:19]
	s_delay_alu instid0(VALU_DEP_3) | instskip(SKIP_1) | instid1(VALU_DEP_4)
	v_add_f64_e32 v[4:5], v[22:23], v[4:5]
	v_mul_f64_e32 v[22:23], s[16:17], v[196:197]
	v_add_f64_e32 v[8:9], v[10:11], v[8:9]
	s_delay_alu instid0(VALU_DEP_2) | instskip(SKIP_1) | instid1(VALU_DEP_2)
	v_fma_f64 v[24:25], v[190:191], s[8:9], -v[22:23]
	v_fma_f64 v[10:11], v[190:191], s[8:9], v[22:23]
	v_add_f64_e32 v[2:3], v[24:25], v[2:3]
	v_mul_f64_e32 v[24:25], s[16:17], v[194:195]
	s_delay_alu instid0(VALU_DEP_3) | instskip(SKIP_1) | instid1(VALU_DEP_3)
	v_add_f64_e32 v[6:7], v[10:11], v[6:7]
	v_mul_f64_e32 v[10:11], s[30:31], v[78:79]
	v_fma_f64 v[12:13], v[192:193], s[8:9], -v[24:25]
	v_fma_f64 v[26:27], v[192:193], s[8:9], v[24:25]
	s_delay_alu instid0(VALU_DEP_2) | instskip(NEXT) | instid1(VALU_DEP_4)
	v_add_f64_e32 v[8:9], v[12:13], v[8:9]
	v_fma_f64 v[12:13], v[80:81], s[14:15], -v[10:11]
	s_delay_alu instid0(VALU_DEP_3) | instskip(SKIP_1) | instid1(VALU_DEP_3)
	v_add_f64_e32 v[4:5], v[26:27], v[4:5]
	v_fma_f64 v[10:11], v[80:81], s[14:15], v[10:11]
	v_add_f64_e32 v[12:13], v[12:13], v[58:59]
	s_delay_alu instid0(VALU_DEP_2) | instskip(NEXT) | instid1(VALU_DEP_2)
	v_add_f64_e32 v[10:11], v[10:11], v[52:53]
	v_add_f64_e32 v[12:13], v[20:21], v[12:13]
	v_mul_f64_e32 v[20:21], s[20:21], v[84:85]
	v_mul_f64_e32 v[84:85], s[28:29], v[208:209]
	s_delay_alu instid0(VALU_DEP_2) | instskip(NEXT) | instid1(VALU_DEP_1)
	v_fma_f64 v[22:23], v[90:91], s[12:13], v[20:21]
	v_add_f64_e32 v[16:17], v[22:23], v[16:17]
	v_mul_f64_e32 v[22:23], s[42:43], v[114:115]
	v_mul_f64_e32 v[114:115], s[20:21], v[212:213]
	s_delay_alu instid0(VALU_DEP_2) | instskip(NEXT) | instid1(VALU_DEP_1)
	v_fma_f64 v[24:25], v[116:117], s[10:11], -v[22:23]
	v_add_f64_e32 v[12:13], v[24:25], v[12:13]
	v_mul_f64_e32 v[24:25], s[42:43], v[112:113]
	v_mul_f64_e32 v[112:113], s[24:25], v[208:209]
	s_delay_alu instid0(VALU_DEP_2) | instskip(NEXT) | instid1(VALU_DEP_1)
	v_fma_f64 v[26:27], v[118:119], s[10:11], v[24:25]
	v_add_f64_e32 v[16:17], v[26:27], v[16:17]
	v_mul_f64_e32 v[26:27], s[16:17], v[126:127]
	v_add_f64_e64 v[126:127], v[96:97], -v[140:141]
	s_delay_alu instid0(VALU_DEP_2) | instskip(NEXT) | instid1(VALU_DEP_2)
	v_fma_f64 v[28:29], v[128:129], s[8:9], -v[26:27]
	v_mul_f64_e32 v[58:59], s[26:27], v[126:127]
	s_delay_alu instid0(VALU_DEP_2) | instskip(SKIP_2) | instid1(VALU_DEP_2)
	v_add_f64_e32 v[12:13], v[28:29], v[12:13]
	v_mul_f64_e32 v[28:29], s[16:17], v[124:125]
	v_add_f64_e32 v[124:125], v[96:97], v[140:141]
	v_fma_f64 v[30:31], v[130:131], s[8:9], v[28:29]
	s_delay_alu instid0(VALU_DEP_1) | instskip(SKIP_1) | instid1(VALU_DEP_1)
	v_add_f64_e32 v[16:17], v[30:31], v[16:17]
	v_mul_f64_e32 v[30:31], s[28:29], v[196:197]
	v_fma_f64 v[34:35], v[190:191], s[2:3], -v[30:31]
	s_delay_alu instid0(VALU_DEP_1) | instskip(SKIP_2) | instid1(VALU_DEP_2)
	v_add_f64_e32 v[194:195], v[34:35], v[12:13]
	v_fma_f64 v[12:13], v[192:193], s[2:3], v[32:33]
	v_add_f64_e32 v[34:35], v[94:95], v[146:147]
	v_add_f64_e32 v[196:197], v[12:13], v[16:17]
	v_fma_f64 v[12:13], v[82:83], s[14:15], -v[14:15]
	v_fma_f64 v[14:15], v[88:89], s[12:13], v[18:19]
	v_fma_f64 v[16:17], v[90:91], s[12:13], -v[20:21]
	v_fma_f64 v[18:19], v[116:117], s[10:11], v[22:23]
	v_fma_f64 v[20:21], v[118:119], s[10:11], -v[24:25]
	v_mul_f64_e32 v[82:83], s[28:29], v[204:205]
	v_mul_f64_e32 v[90:91], s[24:25], v[204:205]
	;; [unrolled: 1-line block ×3, first 2 shown]
	v_add_f64_e32 v[12:13], v[12:13], v[54:55]
	v_add_f64_e32 v[10:11], v[14:15], v[10:11]
	v_fma_f64 v[14:15], v[128:129], s[8:9], v[26:27]
	v_add_f64_e32 v[26:27], v[70:71], v[150:151]
	v_add_f64_e64 v[128:129], v[102:103], -v[138:139]
	v_add_f64_e32 v[12:13], v[16:17], v[12:13]
	v_add_f64_e32 v[10:11], v[18:19], v[10:11]
	v_fma_f64 v[16:17], v[130:131], s[8:9], -v[28:29]
	v_add_f64_e64 v[18:19], v[94:95], -v[146:147]
	v_mul_f64_e32 v[60:61], s[16:17], v[128:129]
	v_add_f64_e64 v[130:131], v[100:101], -v[136:137]
	v_add_f64_e32 v[12:13], v[20:21], v[12:13]
	v_add_f64_e32 v[10:11], v[14:15], v[10:11]
	v_fma_f64 v[14:15], v[190:191], s[2:3], v[30:31]
	v_add_f64_e32 v[20:21], v[92:93], v[144:145]
	v_mul_f64_e32 v[22:23], s[24:25], v[18:19]
	v_mul_f64_e32 v[62:63], s[16:17], v[130:131]
	;; [unrolled: 1-line block ×6, first 2 shown]
	v_add_f64_e32 v[12:13], v[16:17], v[12:13]
	v_fma_f64 v[16:17], v[192:193], s[2:3], -v[32:33]
	v_add_f64_e32 v[190:191], v[14:15], v[10:11]
	v_add_f64_e64 v[10:11], v[70:71], -v[150:151]
	v_fma_f64 v[24:25], v[20:21], s[10:11], -v[22:23]
	v_add_f64_e64 v[32:33], v[92:93], -v[144:145]
	v_fma_f64 v[22:23], v[20:21], s[10:11], v[22:23]
	v_add_f64_e32 v[192:193], v[16:17], v[12:13]
	v_add_f64_e32 v[12:13], v[68:69], v[148:149]
	v_mul_f64_e32 v[14:15], s[38:39], v[10:11]
	v_mul_f64_e32 v[36:37], s[24:25], v[32:33]
	s_delay_alu instid0(VALU_DEP_2) | instskip(SKIP_1) | instid1(VALU_DEP_3)
	v_fma_f64 v[16:17], v[12:13], s[14:15], -v[14:15]
	v_fma_f64 v[14:15], v[12:13], s[14:15], v[14:15]
	v_fma_f64 v[38:39], v[34:35], s[10:11], v[36:37]
	s_delay_alu instid0(VALU_DEP_3) | instskip(NEXT) | instid1(VALU_DEP_3)
	v_add_f64_e32 v[16:17], v[64:65], v[16:17]
	v_add_f64_e32 v[14:15], v[64:65], v[14:15]
	s_delay_alu instid0(VALU_DEP_2) | instskip(SKIP_1) | instid1(VALU_DEP_3)
	v_add_f64_e32 v[16:17], v[24:25], v[16:17]
	v_add_f64_e64 v[24:25], v[68:69], -v[148:149]
	v_add_f64_e32 v[14:15], v[22:23], v[14:15]
	s_delay_alu instid0(VALU_DEP_2) | instskip(NEXT) | instid1(VALU_DEP_1)
	v_mul_f64_e32 v[28:29], s[38:39], v[24:25]
	v_fma_f64 v[30:31], v[26:27], s[14:15], v[28:29]
	v_fma_f64 v[22:23], v[26:27], s[14:15], -v[28:29]
	v_fma_f64 v[28:29], v[34:35], s[10:11], -v[36:37]
	s_delay_alu instid0(VALU_DEP_3) | instskip(NEXT) | instid1(VALU_DEP_3)
	v_add_f64_e32 v[30:31], v[66:67], v[30:31]
	v_add_f64_e32 v[22:23], v[66:67], v[22:23]
	s_delay_alu instid0(VALU_DEP_2) | instskip(SKIP_1) | instid1(VALU_DEP_3)
	v_add_f64_e32 v[30:31], v[38:39], v[30:31]
	v_add_f64_e64 v[38:39], v[98:99], -v[142:143]
	v_add_f64_e32 v[22:23], v[28:29], v[22:23]
	s_delay_alu instid0(VALU_DEP_2) | instskip(NEXT) | instid1(VALU_DEP_1)
	v_mul_f64_e32 v[56:57], s[26:27], v[38:39]
	v_fma_f64 v[52:53], v[124:125], s[2:3], -v[56:57]
	v_fma_f64 v[28:29], v[124:125], s[2:3], v[56:57]
	s_delay_alu instid0(VALU_DEP_2) | instskip(SKIP_1) | instid1(VALU_DEP_3)
	v_add_f64_e32 v[16:17], v[52:53], v[16:17]
	v_fma_f64 v[52:53], v[198:199], s[2:3], v[58:59]
	v_add_f64_e32 v[14:15], v[28:29], v[14:15]
	v_fma_f64 v[28:29], v[198:199], s[2:3], -v[58:59]
	s_delay_alu instid0(VALU_DEP_3) | instskip(SKIP_1) | instid1(VALU_DEP_3)
	v_add_f64_e32 v[30:31], v[52:53], v[30:31]
	v_fma_f64 v[52:53], v[200:201], s[8:9], -v[60:61]
	v_add_f64_e32 v[22:23], v[28:29], v[22:23]
	v_fma_f64 v[28:29], v[200:201], s[8:9], v[60:61]
	s_delay_alu instid0(VALU_DEP_3) | instskip(SKIP_1) | instid1(VALU_DEP_3)
	v_add_f64_e32 v[16:17], v[52:53], v[16:17]
	v_fma_f64 v[52:53], v[202:203], s[8:9], v[62:63]
	v_add_f64_e32 v[14:15], v[28:29], v[14:15]
	v_fma_f64 v[28:29], v[202:203], s[8:9], -v[62:63]
	s_delay_alu instid0(VALU_DEP_3) | instskip(SKIP_1) | instid1(VALU_DEP_3)
	v_add_f64_e32 v[30:31], v[52:53], v[30:31]
	v_fma_f64 v[52:53], v[206:207], s[12:13], -v[72:73]
	v_add_f64_e32 v[22:23], v[28:29], v[22:23]
	v_fma_f64 v[28:29], v[206:207], s[12:13], v[72:73]
	v_mul_f64_e32 v[72:73], s[16:17], v[32:33]
	s_delay_alu instid0(VALU_DEP_4) | instskip(SKIP_1) | instid1(VALU_DEP_4)
	v_add_f64_e32 v[16:17], v[52:53], v[16:17]
	v_fma_f64 v[52:53], v[210:211], s[12:13], v[74:75]
	v_add_f64_e32 v[14:15], v[28:29], v[14:15]
	v_fma_f64 v[28:29], v[210:211], s[12:13], -v[74:75]
	v_fma_f64 v[56:57], v[34:35], s[8:9], v[72:73]
	v_mul_f64_e32 v[74:75], s[22:23], v[38:39]
	v_add_f64_e32 v[30:31], v[52:53], v[30:31]
	v_fma_f64 v[52:53], v[214:215], s[18:19], -v[76:77]
	v_add_f64_e32 v[22:23], v[28:29], v[22:23]
	v_fma_f64 v[28:29], v[214:215], s[18:19], v[76:77]
	v_mul_f64_e32 v[76:77], s[22:23], v[126:127]
	s_delay_alu instid0(VALU_DEP_4) | instskip(SKIP_1) | instid1(VALU_DEP_4)
	v_add_f64_e32 v[40:41], v[52:53], v[16:17]
	v_add_f64_e64 v[16:17], v[108:109], -v[120:121]
	v_add_f64_e32 v[60:61], v[28:29], v[14:15]
	v_mul_f64_e32 v[14:15], s[24:25], v[10:11]
	v_mul_f64_e32 v[28:29], s[16:17], v[18:19]
	s_delay_alu instid0(VALU_DEP_4) | instskip(NEXT) | instid1(VALU_DEP_1)
	v_mul_f64_e32 v[78:79], s[22:23], v[16:17]
	v_fma_f64 v[54:55], v[216:217], s[18:19], v[78:79]
	s_delay_alu instid0(VALU_DEP_1)
	v_add_f64_e32 v[42:43], v[54:55], v[30:31]
	v_fma_f64 v[30:31], v[216:217], s[18:19], -v[78:79]
	v_mul_f64_e32 v[78:79], s[36:37], v[128:129]
	scratch_store_b128 off, v[40:43], off offset:4 ; 16-byte Folded Spill
	v_add_f64_e32 v[62:63], v[30:31], v[22:23]
	v_fma_f64 v[22:23], v[12:13], s[10:11], -v[14:15]
	v_fma_f64 v[30:31], v[20:21], s[8:9], -v[28:29]
	v_fma_f64 v[14:15], v[12:13], s[10:11], v[14:15]
	v_fma_f64 v[28:29], v[20:21], s[8:9], v[28:29]
	s_delay_alu instid0(VALU_DEP_4) | instskip(NEXT) | instid1(VALU_DEP_3)
	v_add_f64_e32 v[22:23], v[64:65], v[22:23]
	v_add_f64_e32 v[14:15], v[64:65], v[14:15]
	s_delay_alu instid0(VALU_DEP_2) | instskip(SKIP_1) | instid1(VALU_DEP_3)
	v_add_f64_e32 v[22:23], v[30:31], v[22:23]
	v_mul_f64_e32 v[30:31], s[24:25], v[24:25]
	v_add_f64_e32 v[14:15], v[28:29], v[14:15]
	s_delay_alu instid0(VALU_DEP_2) | instskip(SKIP_2) | instid1(VALU_DEP_3)
	v_fma_f64 v[36:37], v[26:27], s[10:11], v[30:31]
	v_fma_f64 v[28:29], v[26:27], s[10:11], -v[30:31]
	v_fma_f64 v[30:31], v[34:35], s[8:9], -v[72:73]
	v_add_f64_e32 v[36:37], v[66:67], v[36:37]
	s_delay_alu instid0(VALU_DEP_3) | instskip(NEXT) | instid1(VALU_DEP_2)
	v_add_f64_e32 v[28:29], v[66:67], v[28:29]
	v_add_f64_e32 v[36:37], v[56:57], v[36:37]
	v_fma_f64 v[56:57], v[124:125], s[18:19], -v[74:75]
	s_delay_alu instid0(VALU_DEP_3) | instskip(SKIP_1) | instid1(VALU_DEP_3)
	v_add_f64_e32 v[28:29], v[30:31], v[28:29]
	v_fma_f64 v[30:31], v[124:125], s[18:19], v[74:75]
	v_add_f64_e32 v[22:23], v[56:57], v[22:23]
	v_fma_f64 v[56:57], v[198:199], s[18:19], v[76:77]
	s_delay_alu instid0(VALU_DEP_3) | instskip(SKIP_1) | instid1(VALU_DEP_3)
	v_add_f64_e32 v[14:15], v[30:31], v[14:15]
	v_fma_f64 v[30:31], v[198:199], s[18:19], -v[76:77]
	v_add_f64_e32 v[36:37], v[56:57], v[36:37]
	v_fma_f64 v[56:57], v[200:201], s[12:13], -v[78:79]
	s_delay_alu instid0(VALU_DEP_3) | instskip(SKIP_1) | instid1(VALU_DEP_3)
	v_add_f64_e32 v[28:29], v[30:31], v[28:29]
	v_fma_f64 v[30:31], v[200:201], s[12:13], v[78:79]
	v_add_f64_e32 v[22:23], v[56:57], v[22:23]
	v_fma_f64 v[56:57], v[202:203], s[12:13], v[80:81]
	s_delay_alu instid0(VALU_DEP_3) | instskip(SKIP_2) | instid1(VALU_DEP_4)
	v_add_f64_e32 v[14:15], v[30:31], v[14:15]
	v_fma_f64 v[30:31], v[202:203], s[12:13], -v[80:81]
	v_mul_f64_e32 v[80:81], s[22:23], v[32:33]
	v_add_f64_e32 v[36:37], v[56:57], v[36:37]
	v_fma_f64 v[56:57], v[206:207], s[2:3], -v[82:83]
	s_delay_alu instid0(VALU_DEP_4)
	v_add_f64_e32 v[28:29], v[30:31], v[28:29]
	v_fma_f64 v[30:31], v[206:207], s[2:3], v[82:83]
	v_fma_f64 v[76:77], v[34:35], s[18:19], v[80:81]
	v_mul_f64_e32 v[82:83], s[40:41], v[38:39]
	v_add_f64_e32 v[22:23], v[56:57], v[22:23]
	v_fma_f64 v[56:57], v[210:211], s[2:3], v[84:85]
	v_add_f64_e32 v[14:15], v[30:31], v[14:15]
	v_fma_f64 v[30:31], v[210:211], s[2:3], -v[84:85]
	v_mul_f64_e32 v[84:85], s[40:41], v[126:127]
	s_delay_alu instid0(VALU_DEP_4) | instskip(SKIP_1) | instid1(VALU_DEP_4)
	v_add_f64_e32 v[36:37], v[56:57], v[36:37]
	v_fma_f64 v[56:57], v[214:215], s[14:15], -v[86:87]
	v_add_f64_e32 v[28:29], v[30:31], v[28:29]
	v_fma_f64 v[30:31], v[214:215], s[14:15], v[86:87]
	v_mul_f64_e32 v[86:87], s[30:31], v[128:129]
	s_delay_alu instid0(VALU_DEP_4) | instskip(SKIP_1) | instid1(VALU_DEP_4)
	v_add_f64_e32 v[40:41], v[56:57], v[22:23]
	v_mul_f64_e32 v[22:23], s[30:31], v[16:17]
	v_add_f64_e32 v[72:73], v[30:31], v[14:15]
	v_mul_f64_e32 v[14:15], s[26:27], v[10:11]
	s_delay_alu instid0(VALU_DEP_3) | instskip(SKIP_1) | instid1(VALU_DEP_2)
	v_fma_f64 v[58:59], v[216:217], s[14:15], v[22:23]
	v_fma_f64 v[22:23], v[216:217], s[14:15], -v[22:23]
	v_add_f64_e32 v[42:43], v[58:59], v[36:37]
	s_delay_alu instid0(VALU_DEP_2)
	v_add_f64_e32 v[74:75], v[22:23], v[28:29]
	v_fma_f64 v[22:23], v[12:13], s[2:3], -v[14:15]
	v_mul_f64_e32 v[28:29], s[22:23], v[18:19]
	v_fma_f64 v[14:15], v[12:13], s[2:3], v[14:15]
	scratch_store_b128 off, v[40:43], off offset:20 ; 16-byte Folded Spill
	v_add_f64_e32 v[22:23], v[64:65], v[22:23]
	v_fma_f64 v[30:31], v[20:21], s[18:19], -v[28:29]
	v_add_f64_e32 v[14:15], v[64:65], v[14:15]
	v_fma_f64 v[28:29], v[20:21], s[18:19], v[28:29]
	s_delay_alu instid0(VALU_DEP_3) | instskip(SKIP_1) | instid1(VALU_DEP_3)
	v_add_f64_e32 v[22:23], v[30:31], v[22:23]
	v_mul_f64_e32 v[30:31], s[26:27], v[24:25]
	v_add_f64_e32 v[14:15], v[28:29], v[14:15]
	s_delay_alu instid0(VALU_DEP_2) | instskip(SKIP_2) | instid1(VALU_DEP_3)
	v_fma_f64 v[36:37], v[26:27], s[2:3], v[30:31]
	v_fma_f64 v[28:29], v[26:27], s[2:3], -v[30:31]
	v_fma_f64 v[30:31], v[34:35], s[18:19], -v[80:81]
	v_add_f64_e32 v[36:37], v[66:67], v[36:37]
	s_delay_alu instid0(VALU_DEP_3) | instskip(NEXT) | instid1(VALU_DEP_2)
	v_add_f64_e32 v[28:29], v[66:67], v[28:29]
	v_add_f64_e32 v[36:37], v[76:77], v[36:37]
	v_fma_f64 v[76:77], v[124:125], s[8:9], -v[82:83]
	s_delay_alu instid0(VALU_DEP_3) | instskip(SKIP_1) | instid1(VALU_DEP_3)
	v_add_f64_e32 v[28:29], v[30:31], v[28:29]
	v_fma_f64 v[30:31], v[124:125], s[8:9], v[82:83]
	v_add_f64_e32 v[22:23], v[76:77], v[22:23]
	v_fma_f64 v[76:77], v[198:199], s[8:9], v[84:85]
	s_delay_alu instid0(VALU_DEP_3) | instskip(SKIP_1) | instid1(VALU_DEP_3)
	v_add_f64_e32 v[14:15], v[30:31], v[14:15]
	v_fma_f64 v[30:31], v[198:199], s[8:9], -v[84:85]
	v_add_f64_e32 v[36:37], v[76:77], v[36:37]
	v_fma_f64 v[76:77], v[200:201], s[14:15], -v[86:87]
	s_delay_alu instid0(VALU_DEP_3) | instskip(SKIP_1) | instid1(VALU_DEP_3)
	v_add_f64_e32 v[28:29], v[30:31], v[28:29]
	v_fma_f64 v[30:31], v[200:201], s[14:15], v[86:87]
	v_add_f64_e32 v[22:23], v[76:77], v[22:23]
	v_fma_f64 v[76:77], v[202:203], s[14:15], v[88:89]
	s_delay_alu instid0(VALU_DEP_3) | instskip(SKIP_2) | instid1(VALU_DEP_4)
	v_add_f64_e32 v[14:15], v[30:31], v[14:15]
	v_fma_f64 v[30:31], v[202:203], s[14:15], -v[88:89]
	v_mul_f64_e32 v[88:89], s[36:37], v[32:33]
	v_add_f64_e32 v[36:37], v[76:77], v[36:37]
	v_fma_f64 v[76:77], v[206:207], s[10:11], -v[90:91]
	s_delay_alu instid0(VALU_DEP_4)
	v_add_f64_e32 v[28:29], v[30:31], v[28:29]
	v_fma_f64 v[30:31], v[206:207], s[10:11], v[90:91]
	v_fma_f64 v[84:85], v[34:35], s[12:13], v[88:89]
	v_mul_f64_e32 v[90:91], s[30:31], v[38:39]
	v_add_f64_e32 v[22:23], v[76:77], v[22:23]
	v_fma_f64 v[76:77], v[210:211], s[10:11], v[112:113]
	v_add_f64_e32 v[14:15], v[30:31], v[14:15]
	v_fma_f64 v[30:31], v[210:211], s[10:11], -v[112:113]
	v_mul_f64_e32 v[112:113], s[30:31], v[126:127]
	s_delay_alu instid0(VALU_DEP_4) | instskip(SKIP_1) | instid1(VALU_DEP_4)
	v_add_f64_e32 v[36:37], v[76:77], v[36:37]
	v_fma_f64 v[76:77], v[214:215], s[12:13], -v[114:115]
	v_add_f64_e32 v[28:29], v[30:31], v[28:29]
	v_fma_f64 v[30:31], v[214:215], s[12:13], v[114:115]
	v_mul_f64_e32 v[114:115], s[26:27], v[128:129]
	s_delay_alu instid0(VALU_DEP_4) | instskip(SKIP_1) | instid1(VALU_DEP_4)
	v_add_f64_e32 v[76:77], v[76:77], v[22:23]
	v_mul_f64_e32 v[22:23], s[20:21], v[16:17]
	v_add_f64_e32 v[80:81], v[30:31], v[14:15]
	v_mul_f64_e32 v[14:15], s[16:17], v[10:11]
	s_delay_alu instid0(VALU_DEP_3) | instskip(SKIP_1) | instid1(VALU_DEP_2)
	v_fma_f64 v[78:79], v[216:217], s[12:13], v[22:23]
	v_fma_f64 v[22:23], v[216:217], s[12:13], -v[22:23]
	v_add_f64_e32 v[78:79], v[78:79], v[36:37]
	s_delay_alu instid0(VALU_DEP_2) | instskip(SKIP_3) | instid1(VALU_DEP_3)
	v_add_f64_e32 v[82:83], v[22:23], v[28:29]
	v_fma_f64 v[22:23], v[12:13], s[8:9], -v[14:15]
	v_mul_f64_e32 v[28:29], s[36:37], v[18:19]
	v_fma_f64 v[14:15], v[12:13], s[8:9], v[14:15]
	v_add_f64_e32 v[22:23], v[64:65], v[22:23]
	s_delay_alu instid0(VALU_DEP_3) | instskip(NEXT) | instid1(VALU_DEP_3)
	v_fma_f64 v[30:31], v[20:21], s[12:13], -v[28:29]
	v_add_f64_e32 v[14:15], v[64:65], v[14:15]
	v_fma_f64 v[28:29], v[20:21], s[12:13], v[28:29]
	s_delay_alu instid0(VALU_DEP_3) | instskip(SKIP_1) | instid1(VALU_DEP_3)
	v_add_f64_e32 v[22:23], v[30:31], v[22:23]
	v_mul_f64_e32 v[30:31], s[16:17], v[24:25]
	v_add_f64_e32 v[14:15], v[28:29], v[14:15]
	s_delay_alu instid0(VALU_DEP_2) | instskip(SKIP_2) | instid1(VALU_DEP_3)
	v_fma_f64 v[36:37], v[26:27], s[8:9], v[30:31]
	v_fma_f64 v[28:29], v[26:27], s[8:9], -v[30:31]
	v_fma_f64 v[30:31], v[34:35], s[12:13], -v[88:89]
	v_add_f64_e32 v[36:37], v[66:67], v[36:37]
	s_delay_alu instid0(VALU_DEP_3) | instskip(NEXT) | instid1(VALU_DEP_2)
	v_add_f64_e32 v[28:29], v[66:67], v[28:29]
	v_add_f64_e32 v[36:37], v[84:85], v[36:37]
	v_fma_f64 v[84:85], v[124:125], s[14:15], -v[90:91]
	s_delay_alu instid0(VALU_DEP_3) | instskip(SKIP_1) | instid1(VALU_DEP_3)
	v_add_f64_e32 v[28:29], v[30:31], v[28:29]
	v_fma_f64 v[30:31], v[124:125], s[14:15], v[90:91]
	v_add_f64_e32 v[22:23], v[84:85], v[22:23]
	v_fma_f64 v[84:85], v[198:199], s[14:15], v[112:113]
	s_delay_alu instid0(VALU_DEP_3) | instskip(SKIP_2) | instid1(VALU_DEP_4)
	v_add_f64_e32 v[14:15], v[30:31], v[14:15]
	v_fma_f64 v[30:31], v[198:199], s[14:15], -v[112:113]
	v_mul_f64_e32 v[112:113], s[28:29], v[32:33]
	v_add_f64_e32 v[36:37], v[84:85], v[36:37]
	v_fma_f64 v[84:85], v[200:201], s[2:3], -v[114:115]
	s_delay_alu instid0(VALU_DEP_4) | instskip(SKIP_2) | instid1(VALU_DEP_4)
	v_add_f64_e32 v[28:29], v[30:31], v[28:29]
	v_fma_f64 v[30:31], v[200:201], s[2:3], v[114:115]
	v_fma_f64 v[114:115], v[34:35], s[2:3], v[112:113]
	v_add_f64_e32 v[22:23], v[84:85], v[22:23]
	v_fma_f64 v[84:85], v[202:203], s[2:3], v[116:117]
	s_delay_alu instid0(VALU_DEP_4) | instskip(SKIP_1) | instid1(VALU_DEP_3)
	v_add_f64_e32 v[14:15], v[30:31], v[14:15]
	v_fma_f64 v[30:31], v[202:203], s[2:3], -v[116:117]
	v_add_f64_e32 v[36:37], v[84:85], v[36:37]
	v_fma_f64 v[84:85], v[206:207], s[18:19], -v[118:119]
	s_delay_alu instid0(VALU_DEP_3) | instskip(SKIP_1) | instid1(VALU_DEP_3)
	v_add_f64_e32 v[28:29], v[30:31], v[28:29]
	v_fma_f64 v[30:31], v[206:207], s[18:19], v[118:119]
	v_add_f64_e32 v[22:23], v[84:85], v[22:23]
	v_fma_f64 v[84:85], v[210:211], s[18:19], v[218:219]
	s_delay_alu instid0(VALU_DEP_3) | instskip(SKIP_2) | instid1(VALU_DEP_4)
	v_add_f64_e32 v[14:15], v[30:31], v[14:15]
	v_fma_f64 v[30:31], v[210:211], s[18:19], -v[218:219]
	v_mul_f64_e32 v[218:219], s[24:25], v[126:127]
	v_add_f64_e32 v[36:37], v[84:85], v[36:37]
	v_fma_f64 v[84:85], v[214:215], s[10:11], -v[220:221]
	s_delay_alu instid0(VALU_DEP_4) | instskip(SKIP_2) | instid1(VALU_DEP_4)
	v_add_f64_e32 v[28:29], v[30:31], v[28:29]
	v_fma_f64 v[30:31], v[214:215], s[10:11], v[220:221]
	v_mul_f64_e32 v[220:221], s[44:45], v[128:129]
	v_add_f64_e32 v[84:85], v[84:85], v[22:23]
	v_mul_f64_e32 v[22:23], s[42:43], v[16:17]
	s_delay_alu instid0(VALU_DEP_4) | instskip(SKIP_2) | instid1(VALU_DEP_4)
	v_add_f64_e32 v[88:89], v[30:31], v[14:15]
	v_mul_f64_e32 v[14:15], s[20:21], v[10:11]
	v_mul_f64_e32 v[10:11], s[22:23], v[10:11]
	v_fma_f64 v[86:87], v[216:217], s[10:11], v[22:23]
	v_fma_f64 v[22:23], v[216:217], s[10:11], -v[22:23]
	s_delay_alu instid0(VALU_DEP_2) | instskip(NEXT) | instid1(VALU_DEP_2)
	v_add_f64_e32 v[86:87], v[86:87], v[36:37]
	v_add_f64_e32 v[90:91], v[22:23], v[28:29]
	v_fma_f64 v[22:23], v[12:13], s[12:13], -v[14:15]
	v_mul_f64_e32 v[28:29], s[28:29], v[18:19]
	v_fma_f64 v[14:15], v[12:13], s[12:13], v[14:15]
	s_delay_alu instid0(VALU_DEP_3) | instskip(NEXT) | instid1(VALU_DEP_3)
	v_add_f64_e32 v[22:23], v[64:65], v[22:23]
	v_fma_f64 v[30:31], v[20:21], s[2:3], -v[28:29]
	s_delay_alu instid0(VALU_DEP_3) | instskip(SKIP_1) | instid1(VALU_DEP_3)
	v_add_f64_e32 v[14:15], v[64:65], v[14:15]
	v_fma_f64 v[28:29], v[20:21], s[2:3], v[28:29]
	v_add_f64_e32 v[22:23], v[30:31], v[22:23]
	v_mul_f64_e32 v[30:31], s[20:21], v[24:25]
	s_delay_alu instid0(VALU_DEP_3) | instskip(NEXT) | instid1(VALU_DEP_2)
	v_add_f64_e32 v[14:15], v[28:29], v[14:15]
	v_fma_f64 v[36:37], v[26:27], s[12:13], v[30:31]
	v_fma_f64 v[28:29], v[26:27], s[12:13], -v[30:31]
	v_fma_f64 v[30:31], v[34:35], s[2:3], -v[112:113]
	s_delay_alu instid0(VALU_DEP_3) | instskip(NEXT) | instid1(VALU_DEP_3)
	v_add_f64_e32 v[36:37], v[66:67], v[36:37]
	v_add_f64_e32 v[28:29], v[66:67], v[28:29]
	s_delay_alu instid0(VALU_DEP_2) | instskip(SKIP_1) | instid1(VALU_DEP_3)
	v_add_f64_e32 v[36:37], v[114:115], v[36:37]
	v_mul_f64_e32 v[114:115], s[24:25], v[38:39]
	v_add_f64_e32 v[28:29], v[30:31], v[28:29]
	s_delay_alu instid0(VALU_DEP_2) | instskip(SKIP_1) | instid1(VALU_DEP_2)
	v_fma_f64 v[116:117], v[124:125], s[10:11], -v[114:115]
	v_fma_f64 v[30:31], v[124:125], s[10:11], v[114:115]
	v_add_f64_e32 v[22:23], v[116:117], v[22:23]
	v_fma_f64 v[116:117], v[198:199], s[10:11], v[218:219]
	s_delay_alu instid0(VALU_DEP_3) | instskip(SKIP_1) | instid1(VALU_DEP_3)
	v_add_f64_e32 v[14:15], v[30:31], v[14:15]
	v_fma_f64 v[30:31], v[198:199], s[10:11], -v[218:219]
	v_add_f64_e32 v[36:37], v[116:117], v[36:37]
	v_fma_f64 v[116:117], v[200:201], s[18:19], -v[220:221]
	s_delay_alu instid0(VALU_DEP_3) | instskip(SKIP_1) | instid1(VALU_DEP_3)
	v_add_f64_e32 v[28:29], v[30:31], v[28:29]
	v_fma_f64 v[30:31], v[200:201], s[18:19], v[220:221]
	v_add_f64_e32 v[22:23], v[116:117], v[22:23]
	v_fma_f64 v[116:117], v[202:203], s[18:19], v[222:223]
	s_delay_alu instid0(VALU_DEP_3) | instskip(SKIP_1) | instid1(VALU_DEP_3)
	v_add_f64_e32 v[14:15], v[30:31], v[14:15]
	v_fma_f64 v[30:31], v[202:203], s[18:19], -v[222:223]
	v_add_f64_e32 v[36:37], v[116:117], v[36:37]
	v_fma_f64 v[116:117], v[206:207], s[14:15], -v[224:225]
	s_delay_alu instid0(VALU_DEP_3) | instskip(SKIP_1) | instid1(VALU_DEP_3)
	v_add_f64_e32 v[28:29], v[30:31], v[28:29]
	;; [unrolled: 10-line block ×3, first 2 shown]
	v_fma_f64 v[30:31], v[214:215], s[8:9], v[229:230]
	v_add_f64_e32 v[116:117], v[116:117], v[22:23]
	v_mul_f64_e32 v[22:23], s[16:17], v[16:17]
	s_delay_alu instid0(VALU_DEP_3)
	v_add_f64_e32 v[112:113], v[30:31], v[14:15]
	v_mul_f64_e32 v[14:15], s[30:31], v[18:19]
	v_fma_f64 v[18:19], v[12:13], s[18:19], -v[10:11]
	v_fma_f64 v[10:11], v[12:13], s[18:19], v[10:11]
	v_mul_f64_e32 v[16:17], s[28:29], v[16:17]
	v_fma_f64 v[118:119], v[216:217], s[8:9], v[22:23]
	v_fma_f64 v[22:23], v[216:217], s[8:9], -v[22:23]
	v_add_f64_e32 v[18:19], v[64:65], v[18:19]
	v_add_f64_e32 v[10:11], v[64:65], v[10:11]
	s_delay_alu instid0(VALU_DEP_4) | instskip(NEXT) | instid1(VALU_DEP_4)
	v_add_f64_e32 v[118:119], v[118:119], v[36:37]
	v_add_f64_e32 v[114:115], v[22:23], v[28:29]
	v_fma_f64 v[22:23], v[20:21], s[14:15], -v[14:15]
	v_fma_f64 v[14:15], v[20:21], s[14:15], v[14:15]
	s_delay_alu instid0(VALU_DEP_2) | instskip(SKIP_2) | instid1(VALU_DEP_4)
	v_add_f64_e32 v[18:19], v[22:23], v[18:19]
	v_mul_f64_e32 v[22:23], s[22:23], v[24:25]
	v_mul_f64_e32 v[24:25], s[30:31], v[32:33]
	v_add_f64_e32 v[10:11], v[14:15], v[10:11]
	s_delay_alu instid0(VALU_DEP_3) | instskip(NEXT) | instid1(VALU_DEP_3)
	v_fma_f64 v[28:29], v[26:27], s[18:19], v[22:23]
	v_fma_f64 v[30:31], v[34:35], s[14:15], v[24:25]
	v_fma_f64 v[12:13], v[26:27], s[18:19], -v[22:23]
	s_delay_alu instid0(VALU_DEP_3) | instskip(NEXT) | instid1(VALU_DEP_2)
	v_add_f64_e32 v[28:29], v[66:67], v[28:29]
	v_add_f64_e32 v[12:13], v[66:67], v[12:13]
	s_delay_alu instid0(VALU_DEP_2) | instskip(SKIP_1) | instid1(VALU_DEP_1)
	v_add_f64_e32 v[28:29], v[30:31], v[28:29]
	v_mul_f64_e32 v[30:31], s[20:21], v[38:39]
	v_fma_f64 v[32:33], v[124:125], s[12:13], -v[30:31]
	v_fma_f64 v[14:15], v[124:125], s[12:13], v[30:31]
	s_delay_alu instid0(VALU_DEP_2) | instskip(SKIP_1) | instid1(VALU_DEP_3)
	v_add_f64_e32 v[18:19], v[32:33], v[18:19]
	v_mul_f64_e32 v[32:33], s[20:21], v[126:127]
	v_add_f64_e32 v[10:11], v[14:15], v[10:11]
	s_delay_alu instid0(VALU_DEP_2) | instskip(NEXT) | instid1(VALU_DEP_1)
	v_fma_f64 v[36:37], v[198:199], s[12:13], v[32:33]
	v_add_f64_e32 v[28:29], v[36:37], v[28:29]
	v_mul_f64_e32 v[36:37], s[42:43], v[128:129]
	s_delay_alu instid0(VALU_DEP_1) | instskip(SKIP_1) | instid1(VALU_DEP_2)
	v_fma_f64 v[38:39], v[200:201], s[10:11], -v[36:37]
	v_fma_f64 v[14:15], v[200:201], s[10:11], v[36:37]
	v_add_f64_e32 v[18:19], v[38:39], v[18:19]
	v_mul_f64_e32 v[38:39], s[42:43], v[130:131]
	s_delay_alu instid0(VALU_DEP_3) | instskip(NEXT) | instid1(VALU_DEP_2)
	v_add_f64_e32 v[10:11], v[14:15], v[10:11]
	v_fma_f64 v[126:127], v[202:203], s[10:11], v[38:39]
	s_delay_alu instid0(VALU_DEP_1) | instskip(SKIP_3) | instid1(VALU_DEP_3)
	v_add_f64_e32 v[28:29], v[126:127], v[28:29]
	v_mul_f64_e32 v[126:127], s[16:17], v[204:205]
	v_mul_f64_e32 v[204:205], s[16:17], v[208:209]
	;; [unrolled: 1-line block ×3, first 2 shown]
	v_fma_f64 v[14:15], v[206:207], s[8:9], v[126:127]
	v_fma_f64 v[128:129], v[206:207], s[8:9], -v[126:127]
	s_delay_alu instid0(VALU_DEP_2) | instskip(NEXT) | instid1(VALU_DEP_4)
	v_add_f64_e32 v[10:11], v[14:15], v[10:11]
	v_fma_f64 v[14:15], v[214:215], s[2:3], v[208:209]
	s_delay_alu instid0(VALU_DEP_3) | instskip(SKIP_1) | instid1(VALU_DEP_3)
	v_add_f64_e32 v[18:19], v[128:129], v[18:19]
	v_fma_f64 v[128:129], v[210:211], s[8:9], v[204:205]
	v_add_f64_e32 v[124:125], v[14:15], v[10:11]
	scratch_load_b32 v10, off, off          ; 4-byte Folded Reload
	v_add_f64_e32 v[28:29], v[128:129], v[28:29]
	v_fma_f64 v[128:129], v[214:215], s[2:3], -v[208:209]
	global_wb scope:SCOPE_SE
	s_wait_loadcnt 0x0
	s_wait_storecnt 0x0
	s_wait_kmcnt 0x0
	s_barrier_signal -1
	s_barrier_wait -1
	global_inv scope:SCOPE_SE
	v_add_f64_e32 v[128:129], v[128:129], v[18:19]
	v_fma_f64 v[18:19], v[216:217], s[2:3], v[16:17]
	v_fma_f64 v[16:17], v[216:217], s[2:3], -v[16:17]
	s_delay_alu instid0(VALU_DEP_2) | instskip(SKIP_1) | instid1(VALU_DEP_1)
	v_add_f64_e32 v[130:131], v[18:19], v[28:29]
	v_fma_f64 v[18:19], v[34:35], s[14:15], -v[24:25]
	v_add_f64_e32 v[12:13], v[18:19], v[12:13]
	v_fma_f64 v[18:19], v[198:199], s[12:13], -v[32:33]
	s_delay_alu instid0(VALU_DEP_1) | instskip(SKIP_1) | instid1(VALU_DEP_1)
	v_add_f64_e32 v[12:13], v[18:19], v[12:13]
	v_fma_f64 v[18:19], v[202:203], s[10:11], -v[38:39]
	v_add_f64_e32 v[12:13], v[18:19], v[12:13]
	v_fma_f64 v[18:19], v[210:211], s[8:9], -v[204:205]
	s_delay_alu instid0(VALU_DEP_1) | instskip(NEXT) | instid1(VALU_DEP_1)
	v_add_f64_e32 v[12:13], v[18:19], v[12:13]
	v_add_f64_e32 v[126:127], v[16:17], v[12:13]
	v_mul_lo_u16 v10, v10, 13
	s_delay_alu instid0(VALU_DEP_1) | instskip(NEXT) | instid1(VALU_DEP_1)
	v_and_b32_e32 v10, 0xffff, v10
	v_lshl_add_u32 v12, v10, 4, v255
	ds_store_b128 v12, v[152:155]
	ds_store_b128 v12, v[160:163] offset:16
	ds_store_b128 v12, v[168:171] offset:32
	;; [unrolled: 1-line block ×12, first 2 shown]
	s_and_saveexec_b32 s2, vcc_lo
	s_cbranch_execz .LBB0_7
; %bb.6:
	v_add_f64_e32 v[2:3], v[66:67], v[70:71]
	v_add_f64_e32 v[4:5], v[64:65], v[68:69]
	s_delay_alu instid0(VALU_DEP_2) | instskip(NEXT) | instid1(VALU_DEP_2)
	v_add_f64_e32 v[2:3], v[2:3], v[94:95]
	v_add_f64_e32 v[4:5], v[4:5], v[92:93]
	s_delay_alu instid0(VALU_DEP_2) | instskip(NEXT) | instid1(VALU_DEP_2)
	;; [unrolled: 3-line block ×11, first 2 shown]
	v_add_f64_e32 v[4:5], v[2:3], v[150:151]
	v_add_f64_e32 v[2:3], v[6:7], v[148:149]
	scratch_load_b128 v[6:9], off, off offset:20 ; 16-byte Folded Reload
	s_wait_loadcnt 0x0
	ds_store_b128 v255, v[6:9] offset:2736
	ds_store_b128 v255, v[76:79] offset:2752
	;; [unrolled: 1-line block ×11, first 2 shown]
	scratch_load_b128 v[2:5], off, off offset:4 ; 16-byte Folded Reload
	s_wait_loadcnt 0x0
	ds_store_b128 v255, v[2:5] offset:2720
	ds_store_b128 v255, v[60:63] offset:2896
.LBB0_7:
	s_wait_alu 0xfffe
	s_or_b32 exec_lo, exec_lo, s2
	scratch_load_b32 v43, off, off          ; 4-byte Folded Reload
	global_wb scope:SCOPE_SE
	s_wait_loadcnt_dscnt 0x0
	s_barrier_signal -1
	s_barrier_wait -1
	global_inv scope:SCOPE_SE
	ds_load_b128 v[96:99], v228 offset:1664
	ds_load_b128 v[100:103], v228 offset:1872
	s_mov_b32 s14, 0xe976ee23
	s_mov_b32 s15, 0xbfe11646
	s_mov_b32 s2, 0x429ad128
	s_mov_b32 s18, 0x37e14327
	s_mov_b32 s3, 0x3febfeb5
	s_mov_b32 s19, 0x3fe948f6
	s_mov_b32 s10, 0xaaaaaaaa
	s_mov_b32 s12, 0x5476071b
	s_mov_b32 s16, 0xb247c609
	s_mov_b32 s11, 0xbff2aaaa
	s_mov_b32 s13, 0x3fe77f67
	s_mov_b32 s21, 0xbfe77f67
	s_mov_b32 s17, 0x3fd5d0dc
	s_mov_b32 s23, 0xbfd5d0dc
	s_wait_alu 0xfffe
	s_mov_b32 s22, s16
	s_mov_b32 s20, s12
	s_mov_b32 s8, 0x37c3f68c
	s_mov_b32 s9, 0x3fdc38aa
	ds_load_b128 v[8:11], v228 offset:1248
	v_lshlrev_b32_e32 v2, 4, v43
	v_add_nc_u16 v3, v43, 26
	v_add_nc_u16 v17, v43, 39
	;; [unrolled: 1-line block ×3, first 2 shown]
	global_load_b128 v[64:67], v2, s[0:1]
	v_and_b32_e32 v4, 0xff, v3
	v_and_b32_e32 v18, 0xff, v17
	;; [unrolled: 1-line block ×3, first 2 shown]
	s_delay_alu instid0(VALU_DEP_3) | instskip(NEXT) | instid1(VALU_DEP_3)
	v_mul_lo_u16 v4, 0x4f, v4
	v_mul_lo_u16 v18, 0x4f, v18
	s_delay_alu instid0(VALU_DEP_3) | instskip(NEXT) | instid1(VALU_DEP_3)
	v_mul_lo_u16 v22, 0x4f, v22
	v_lshrrev_b16 v4, 10, v4
	s_delay_alu instid0(VALU_DEP_3) | instskip(NEXT) | instid1(VALU_DEP_3)
	v_lshrrev_b16 v18, 10, v18
	v_lshrrev_b16 v22, 10, v22
	s_delay_alu instid0(VALU_DEP_3) | instskip(NEXT) | instid1(VALU_DEP_3)
	v_mul_lo_u16 v4, v4, 13
	v_mul_lo_u16 v18, v18, 13
	s_delay_alu instid0(VALU_DEP_3) | instskip(NEXT) | instid1(VALU_DEP_3)
	v_mul_lo_u16 v22, v22, 13
	v_sub_nc_u16 v3, v3, v4
	s_delay_alu instid0(VALU_DEP_3) | instskip(NEXT) | instid1(VALU_DEP_3)
	v_sub_nc_u16 v17, v17, v18
	v_sub_nc_u16 v21, v21, v22
	ds_load_b128 v[4:7], v228 offset:1456
	v_and_b32_e32 v3, 0xff, v3
	v_and_b32_e32 v17, 0xff, v17
	;; [unrolled: 1-line block ×3, first 2 shown]
	s_delay_alu instid0(VALU_DEP_3) | instskip(NEXT) | instid1(VALU_DEP_3)
	v_lshlrev_b32_e32 v3, 4, v3
	v_lshlrev_b32_e32 v39, 4, v17
	s_delay_alu instid0(VALU_DEP_3)
	v_lshlrev_b32_e32 v40, 4, v21
	s_clause 0x1
	global_load_b128 v[68:71], v3, s[0:1]
	global_load_b128 v[92:95], v39, s[0:1]
	v_add_nc_u32_e32 v3, v255, v3
	s_wait_loadcnt_dscnt 0x203
	v_mul_f64_e32 v[17:18], v[98:99], v[66:67]
	v_mul_f64_e32 v[19:20], v[96:97], v[66:67]
	s_wait_dscnt 0x0
	v_mul_f64_e32 v[13:14], v[6:7], v[66:67]
	v_mul_f64_e32 v[15:16], v[4:5], v[66:67]
	s_delay_alu instid0(VALU_DEP_4) | instskip(NEXT) | instid1(VALU_DEP_4)
	v_fma_f64 v[17:18], v[96:97], v[64:65], -v[17:18]
	v_fma_f64 v[19:20], v[98:99], v[64:65], v[19:20]
	global_load_b128 v[96:99], v40, s[0:1]
	v_fma_f64 v[13:14], v[4:5], v[64:65], -v[13:14]
	v_fma_f64 v[15:16], v[6:7], v[64:65], v[15:16]
	s_wait_loadcnt 0x2
	v_mul_f64_e32 v[4:5], v[102:103], v[70:71]
	v_mul_f64_e32 v[6:7], v[100:101], v[70:71]
	s_delay_alu instid0(VALU_DEP_2) | instskip(NEXT) | instid1(VALU_DEP_2)
	v_fma_f64 v[21:22], v[100:101], v[68:69], -v[4:5]
	v_fma_f64 v[23:24], v[102:103], v[68:69], v[6:7]
	ds_load_b128 v[4:7], v228 offset:2080
	ds_load_b128 v[100:103], v228 offset:2288
	s_wait_loadcnt_dscnt 0x101
	v_mul_f64_e32 v[25:26], v[6:7], v[94:95]
	s_delay_alu instid0(VALU_DEP_1) | instskip(SKIP_1) | instid1(VALU_DEP_1)
	v_fma_f64 v[25:26], v[4:5], v[92:93], -v[25:26]
	v_mul_f64_e32 v[4:5], v[4:5], v[94:95]
	v_fma_f64 v[27:28], v[6:7], v[92:93], v[4:5]
	s_wait_loadcnt_dscnt 0x0
	v_mul_f64_e32 v[4:5], v[102:103], v[98:99]
	s_delay_alu instid0(VALU_DEP_1) | instskip(SKIP_1) | instid1(VALU_DEP_1)
	v_fma_f64 v[29:30], v[100:101], v[96:97], -v[4:5]
	v_mul_f64_e32 v[4:5], v[100:101], v[98:99]
	v_fma_f64 v[31:32], v[102:103], v[96:97], v[4:5]
	v_add_nc_u16 v4, v43, 0x41
	s_delay_alu instid0(VALU_DEP_1) | instskip(NEXT) | instid1(VALU_DEP_1)
	v_and_b32_e32 v5, 0xff, v4
	v_mul_lo_u16 v5, 0x4f, v5
	s_delay_alu instid0(VALU_DEP_1) | instskip(NEXT) | instid1(VALU_DEP_1)
	v_lshrrev_b16 v5, 10, v5
	v_mul_lo_u16 v5, v5, 13
	s_delay_alu instid0(VALU_DEP_1) | instskip(SKIP_1) | instid1(VALU_DEP_2)
	v_sub_nc_u16 v4, v4, v5
	v_add_nc_u16 v5, v43, 0x4e
	v_and_b32_e32 v4, 0xff, v4
	s_delay_alu instid0(VALU_DEP_2) | instskip(NEXT) | instid1(VALU_DEP_2)
	v_and_b32_e32 v6, 0xff, v5
	v_lshlrev_b32_e32 v41, 4, v4
	s_delay_alu instid0(VALU_DEP_2) | instskip(NEXT) | instid1(VALU_DEP_1)
	v_mul_lo_u16 v6, 0x4f, v6
	v_lshrrev_b16 v6, 10, v6
	s_delay_alu instid0(VALU_DEP_1) | instskip(NEXT) | instid1(VALU_DEP_1)
	v_mul_lo_u16 v6, v6, 13
	v_sub_nc_u16 v5, v5, v6
	s_delay_alu instid0(VALU_DEP_1) | instskip(NEXT) | instid1(VALU_DEP_1)
	v_and_b32_e32 v5, 0xff, v5
	v_lshlrev_b32_e32 v42, 4, v5
	s_clause 0x1
	global_load_b128 v[108:111], v41, s[0:1]
	global_load_b128 v[104:107], v42, s[0:1]
	ds_load_b128 v[4:7], v228 offset:2496
	ds_load_b128 v[100:103], v228 offset:2704
	s_wait_loadcnt_dscnt 0x101
	v_mul_f64_e32 v[33:34], v[6:7], v[110:111]
	s_delay_alu instid0(VALU_DEP_1) | instskip(SKIP_1) | instid1(VALU_DEP_1)
	v_fma_f64 v[33:34], v[4:5], v[108:109], -v[33:34]
	v_mul_f64_e32 v[4:5], v[4:5], v[110:111]
	v_fma_f64 v[35:36], v[6:7], v[108:109], v[4:5]
	s_wait_loadcnt_dscnt 0x0
	v_mul_f64_e32 v[4:5], v[102:103], v[106:107]
	s_delay_alu instid0(VALU_DEP_1) | instskip(SKIP_1) | instid1(VALU_DEP_2)
	v_fma_f64 v[37:38], v[100:101], v[104:105], -v[4:5]
	v_mul_f64_e32 v[4:5], v[100:101], v[106:107]
	v_add_f64_e64 v[168:169], v[8:9], -v[37:38]
	s_delay_alu instid0(VALU_DEP_2)
	v_fma_f64 v[170:171], v[102:103], v[104:105], v[4:5]
	ds_load_b128 v[4:7], v228
	ds_load_b128 v[100:103], v228 offset:208
	ds_load_b128 v[136:139], v228 offset:416
	;; [unrolled: 1-line block ×5, first 2 shown]
	global_wb scope:SCOPE_SE
	s_wait_dscnt 0x0
	s_barrier_signal -1
	s_barrier_wait -1
	global_inv scope:SCOPE_SE
	v_add_f64_e64 v[120:121], v[4:5], -v[13:14]
	v_add_f64_e64 v[144:145], v[136:137], -v[21:22]
	;; [unrolled: 1-line block ×12, first 2 shown]
	v_mad_co_u64_u32 v[13:14], null, 0x60, v43, s[0:1]
	s_mov_b32 s0, 0x36b3c0b5
	s_mov_b32 s1, 0x3fac98ee
	v_fma_f64 v[8:9], v[8:9], 2.0, -v[168:169]
	v_add_f64_e64 v[170:171], v[10:11], -v[170:171]
	v_fma_f64 v[4:5], v[4:5], 2.0, -v[120:121]
	v_fma_f64 v[136:137], v[136:137], 2.0, -v[144:145]
	;; [unrolled: 1-line block ×12, first 2 shown]
	ds_store_b128 v228, v[120:123] offset:208
	ds_store_b128 v228, v[4:7]
	ds_store_b128 v228, v[132:135] offset:624
	ds_store_b128 v228, v[100:103] offset:416
	v_fma_f64 v[10:11], v[10:11], 2.0, -v[170:171]
	ds_store_b128 v3, v[144:147] offset:1040
	ds_store_b128 v3, v[136:139] offset:832
	scratch_store_b32 off, v3, off offset:268 ; 4-byte Folded Spill
	v_add_nc_u32_e32 v3, v255, v39
	ds_store_b128 v3, v[148:151] offset:1456
	ds_store_b128 v3, v[140:143] offset:1248
	scratch_store_b32 off, v3, off offset:272 ; 4-byte Folded Spill
	v_add_nc_u32_e32 v3, v255, v40
	ds_store_b128 v3, v[160:163] offset:1872
	ds_store_b128 v3, v[152:155] offset:1664
	scratch_store_b32 off, v3, off offset:264 ; 4-byte Folded Spill
	v_add_nc_u32_e32 v3, v255, v41
	ds_store_b128 v3, v[164:167] offset:2288
	ds_store_b128 v3, v[156:159] offset:2080
	scratch_store_b32 off, v3, off offset:260 ; 4-byte Folded Spill
	v_add_nc_u32_e32 v3, v255, v42
	ds_store_b128 v3, v[168:171] offset:2704
	scratch_store_b32 off, v3, off offset:256 ; 4-byte Folded Spill
	ds_store_b128 v3, v[8:11] offset:2496
	global_wb scope:SCOPE_SE
	s_wait_storecnt_dscnt 0x0
	s_barrier_signal -1
	s_barrier_wait -1
	global_inv scope:SCOPE_SE
	s_clause 0x1
	global_load_b128 v[100:103], v[13:14], off offset:208
	global_load_b128 v[120:123], v[13:14], off offset:224
	ds_load_b128 v[3:6], v228 offset:416
	ds_load_b128 v[7:10], v228 offset:624
	s_wait_loadcnt_dscnt 0x101
	v_mul_f64_e32 v[15:16], v[5:6], v[102:103]
	s_delay_alu instid0(VALU_DEP_1) | instskip(SKIP_1) | instid1(VALU_DEP_1)
	v_fma_f64 v[15:16], v[3:4], v[100:101], -v[15:16]
	v_mul_f64_e32 v[3:4], v[3:4], v[102:103]
	v_fma_f64 v[17:18], v[5:6], v[100:101], v[3:4]
	ds_load_b128 v[3:6], v228 offset:832
	ds_load_b128 v[148:151], v228 offset:1040
	s_clause 0x1
	global_load_b128 v[136:139], v[13:14], off offset:288
	global_load_b128 v[132:135], v[13:14], off offset:272
	s_wait_loadcnt_dscnt 0x201
	v_mul_f64_e32 v[19:20], v[5:6], v[122:123]
	s_delay_alu instid0(VALU_DEP_1) | instskip(SKIP_1) | instid1(VALU_DEP_1)
	v_fma_f64 v[19:20], v[3:4], v[120:121], -v[19:20]
	v_mul_f64_e32 v[3:4], v[3:4], v[122:123]
	v_fma_f64 v[21:22], v[5:6], v[120:121], v[3:4]
	ds_load_b128 v[3:6], v228 offset:2496
	ds_load_b128 v[156:159], v228 offset:2704
	s_wait_loadcnt_dscnt 0x101
	v_mul_f64_e32 v[23:24], v[5:6], v[138:139]
	s_delay_alu instid0(VALU_DEP_1) | instskip(SKIP_1) | instid1(VALU_DEP_1)
	v_fma_f64 v[23:24], v[3:4], v[136:137], -v[23:24]
	v_mul_f64_e32 v[3:4], v[3:4], v[138:139]
	v_fma_f64 v[25:26], v[5:6], v[136:137], v[3:4]
	ds_load_b128 v[3:6], v228 offset:2080
	ds_load_b128 v[160:163], v228 offset:2288
	s_clause 0x1
	global_load_b128 v[144:147], v[13:14], off offset:1456
	global_load_b128 v[140:143], v[13:14], off offset:1472
	s_wait_loadcnt_dscnt 0x201
	v_mul_f64_e32 v[27:28], v[5:6], v[134:135]
	v_add_f64_e32 v[192:193], v[17:18], v[25:26]
	v_add_f64_e64 v[17:18], v[17:18], -v[25:26]
	s_delay_alu instid0(VALU_DEP_3) | instskip(SKIP_1) | instid1(VALU_DEP_2)
	v_fma_f64 v[27:28], v[3:4], v[132:133], -v[27:28]
	v_mul_f64_e32 v[3:4], v[3:4], v[134:135]
	v_add_f64_e32 v[184:185], v[19:20], v[27:28]
	s_delay_alu instid0(VALU_DEP_2) | instskip(SKIP_1) | instid1(VALU_DEP_2)
	v_fma_f64 v[29:30], v[5:6], v[132:133], v[3:4]
	v_add_f64_e64 v[19:20], v[19:20], -v[27:28]
	v_add_f64_e32 v[194:195], v[21:22], v[29:30]
	v_add_f64_e64 v[21:22], v[21:22], -v[29:30]
	s_wait_loadcnt 0x1
	v_mul_f64_e32 v[3:4], v[9:10], v[146:147]
	s_delay_alu instid0(VALU_DEP_1) | instskip(SKIP_1) | instid1(VALU_DEP_1)
	v_fma_f64 v[31:32], v[7:8], v[144:145], -v[3:4]
	v_mul_f64_e32 v[3:4], v[7:8], v[146:147]
	v_fma_f64 v[33:34], v[9:10], v[144:145], v[3:4]
	s_wait_loadcnt 0x0
	v_mul_f64_e32 v[3:4], v[150:151], v[142:143]
	s_delay_alu instid0(VALU_DEP_1) | instskip(SKIP_1) | instid1(VALU_DEP_1)
	v_fma_f64 v[35:36], v[148:149], v[140:141], -v[3:4]
	v_mul_f64_e32 v[3:4], v[148:149], v[142:143]
	v_fma_f64 v[37:38], v[150:151], v[140:141], v[3:4]
	s_clause 0x1
	global_load_b128 v[152:155], v[13:14], off offset:1536
	global_load_b128 v[148:151], v[13:14], off offset:1520
	s_wait_loadcnt 0x1
	v_mul_f64_e32 v[3:4], v[158:159], v[154:155]
	s_delay_alu instid0(VALU_DEP_1) | instskip(SKIP_1) | instid1(VALU_DEP_2)
	v_fma_f64 v[202:203], v[156:157], v[152:153], -v[3:4]
	v_mul_f64_e32 v[3:4], v[156:157], v[154:155]
	v_add_f64_e32 v[214:215], v[31:32], v[202:203]
	s_delay_alu instid0(VALU_DEP_2) | instskip(SKIP_2) | instid1(VALU_DEP_2)
	v_fma_f64 v[204:205], v[158:159], v[152:153], v[3:4]
	s_wait_loadcnt_dscnt 0x0
	v_mul_f64_e32 v[3:4], v[162:163], v[150:151]
	v_add_f64_e32 v[222:223], v[33:34], v[204:205]
	s_delay_alu instid0(VALU_DEP_2) | instskip(SKIP_1) | instid1(VALU_DEP_2)
	v_fma_f64 v[206:207], v[160:161], v[148:149], -v[3:4]
	v_mul_f64_e32 v[3:4], v[160:161], v[150:151]
	v_add_f64_e32 v[216:217], v[35:36], v[206:207]
	s_delay_alu instid0(VALU_DEP_2)
	v_fma_f64 v[208:209], v[162:163], v[148:149], v[3:4]
	s_clause 0x1
	global_load_b128 v[156:159], v[13:14], off offset:240
	global_load_b128 v[160:163], v[13:14], off offset:256
	ds_load_b128 v[3:6], v228 offset:1248
	ds_load_b128 v[7:10], v228 offset:1456
	v_add_f64_e32 v[200:201], v[216:217], v[214:215]
	v_add_f64_e32 v[224:225], v[37:38], v[208:209]
	s_wait_loadcnt_dscnt 0x101
	v_mul_f64_e32 v[164:165], v[5:6], v[158:159]
	s_delay_alu instid0(VALU_DEP_1) | instskip(SKIP_1) | instid1(VALU_DEP_1)
	v_fma_f64 v[176:177], v[3:4], v[156:157], -v[164:165]
	v_mul_f64_e32 v[3:4], v[3:4], v[158:159]
	v_fma_f64 v[178:179], v[5:6], v[156:157], v[3:4]
	ds_load_b128 v[3:6], v228 offset:1664
	ds_load_b128 v[172:175], v228 offset:1872
	s_wait_loadcnt_dscnt 0x1
	v_mul_f64_e32 v[164:165], v[5:6], v[162:163]
	s_delay_alu instid0(VALU_DEP_1)
	v_fma_f64 v[180:181], v[3:4], v[160:161], -v[164:165]
	s_clause 0x1
	global_load_b128 v[168:171], v[13:14], off offset:1488
	global_load_b128 v[164:167], v[13:14], off offset:1504
	v_mul_f64_e32 v[3:4], v[3:4], v[162:163]
	v_add_f64_e32 v[186:187], v[176:177], v[180:181]
	v_add_f64_e64 v[27:28], v[180:181], -v[176:177]
	s_delay_alu instid0(VALU_DEP_3) | instskip(NEXT) | instid1(VALU_DEP_3)
	v_fma_f64 v[182:183], v[5:6], v[160:161], v[3:4]
	v_add_f64_e64 v[231:232], v[186:187], -v[184:185]
	s_delay_alu instid0(VALU_DEP_3) | instskip(NEXT) | instid1(VALU_DEP_3)
	v_add_f64_e64 v[25:26], v[27:28], -v[19:20]
	v_add_f64_e32 v[196:197], v[178:179], v[182:183]
	s_delay_alu instid0(VALU_DEP_2) | instskip(NEXT) | instid1(VALU_DEP_2)
	v_mul_f64_e32 v[25:26], s[14:15], v[25:26]
	v_add_f64_e64 v[233:234], v[196:197], -v[194:195]
	s_wait_loadcnt 0x1
	v_mul_f64_e32 v[3:4], v[9:10], v[170:171]
	s_delay_alu instid0(VALU_DEP_1) | instskip(SKIP_1) | instid1(VALU_DEP_1)
	v_fma_f64 v[13:14], v[7:8], v[168:169], -v[3:4]
	v_mul_f64_e32 v[3:4], v[7:8], v[170:171]
	v_fma_f64 v[210:211], v[9:10], v[168:169], v[3:4]
	s_wait_loadcnt_dscnt 0x0
	v_mul_f64_e32 v[3:4], v[174:175], v[166:167]
	s_delay_alu instid0(VALU_DEP_1) | instskip(SKIP_1) | instid1(VALU_DEP_2)
	v_fma_f64 v[212:213], v[172:173], v[164:165], -v[3:4]
	v_mul_f64_e32 v[3:4], v[172:173], v[166:167]
	v_add_f64_e32 v[218:219], v[13:14], v[212:213]
	s_delay_alu instid0(VALU_DEP_2)
	v_fma_f64 v[172:173], v[174:175], v[164:165], v[3:4]
	v_add_f64_e32 v[174:175], v[15:16], v[23:24]
	v_add_f64_e64 v[15:16], v[15:16], -v[23:24]
	v_add_f64_e64 v[23:24], v[182:183], -v[178:179]
	s_wait_alu 0xfffe
	v_mul_f64_e32 v[178:179], s[0:1], v[233:234]
	v_add_f64_e64 v[13:14], v[212:213], -v[13:14]
	v_add_f64_e32 v[220:221], v[218:219], v[200:201]
	v_add_f64_e32 v[226:227], v[210:211], v[172:173]
	v_add_f64_e32 v[3:4], v[184:185], v[174:175]
	v_add_f64_e32 v[200:201], v[224:225], v[222:223]
	v_add_f64_e64 v[29:30], v[19:20], -v[15:16]
	v_add_f64_e32 v[19:20], v[27:28], v[19:20]
	v_add_f64_e64 v[176:177], v[23:24], -v[21:22]
	v_add_f64_e64 v[184:185], v[184:185], -v[174:175]
	;; [unrolled: 1-line block ×3, first 2 shown]
	v_add_f64_e32 v[190:191], v[186:187], v[3:4]
	v_add_f64_e32 v[3:4], v[194:195], v[192:193]
	;; [unrolled: 1-line block ×3, first 2 shown]
	v_add_f64_e64 v[200:201], v[21:22], -v[17:18]
	v_add_f64_e32 v[21:22], v[23:24], v[21:22]
	v_add_f64_e64 v[186:187], v[192:193], -v[196:197]
	v_add_f64_e64 v[194:195], v[194:195], -v[192:193]
	v_add_f64_e32 v[19:20], v[19:20], v[15:16]
	v_fma_f64 v[180:181], v[29:30], s[2:3], -v[25:26]
	v_add_f64_e64 v[15:16], v[15:16], -v[27:28]
	v_mul_f64_e32 v[235:236], s[14:15], v[176:177]
	v_mul_f64_e32 v[176:177], s[0:1], v[231:232]
	v_add_f64_e32 v[198:199], v[196:197], v[3:4]
	ds_load_b128 v[3:6], v228
	ds_load_b128 v[7:10], v228 offset:208
	v_mul_f64_e32 v[27:28], s[2:3], v[200:201]
	v_add_f64_e32 v[21:22], v[21:22], v[17:18]
	v_add_f64_e64 v[17:18], v[17:18], -v[23:24]
	v_mul_f64_e32 v[23:24], s[2:3], v[29:30]
	v_mul_f64_e32 v[29:30], s[18:19], v[174:175]
	;; [unrolled: 1-line block ×3, first 2 shown]
	v_fma_f64 v[182:183], v[19:20], s[8:9], v[180:181]
	v_fma_f64 v[180:181], v[200:201], s[2:3], -v[235:236]
	v_fma_f64 v[176:177], v[184:185], s[12:13], -v[176:177]
	;; [unrolled: 1-line block ×3, first 2 shown]
	s_wait_dscnt 0x1
	v_add_f64_e32 v[3:4], v[3:4], v[190:191]
	s_wait_dscnt 0x0
	v_add_f64_e32 v[7:8], v[7:8], v[220:221]
	v_add_f64_e32 v[9:10], v[9:10], v[229:230]
	;; [unrolled: 1-line block ×3, first 2 shown]
	v_fma_f64 v[27:28], v[17:18], s[22:23], -v[27:28]
	v_fma_f64 v[23:24], v[15:16], s[22:23], -v[23:24]
	v_fma_f64 v[15:16], v[15:16], s[16:17], v[25:26]
	v_fma_f64 v[186:187], v[194:195], s[20:21], -v[174:175]
	v_fma_f64 v[17:18], v[17:18], s[16:17], v[235:236]
	v_fma_f64 v[25:26], v[233:234], s[0:1], v[174:175]
	;; [unrolled: 1-line block ×3, first 2 shown]
	v_fma_f64 v[184:185], v[184:185], s[20:21], -v[29:30]
	v_fma_f64 v[237:238], v[190:191], s[10:11], v[3:4]
	v_fma_f64 v[220:221], v[220:221], s[10:11], v[7:8]
	;; [unrolled: 1-line block ×7, first 2 shown]
	v_add_f64_e32 v[190:191], v[176:177], v[237:238]
	v_add_f64_e32 v[192:193], v[186:187], v[198:199]
	;; [unrolled: 1-line block ×4, first 2 shown]
	s_delay_alu instid0(VALU_DEP_4)
	v_add_f64_e64 v[176:177], v[190:191], -v[180:181]
	v_add_f64_e32 v[180:181], v[180:181], v[190:191]
	v_add_f64_e32 v[190:191], v[184:185], v[237:238]
	v_add_f64_e64 v[186:187], v[192:193], -v[23:24]
	v_add_f64_e32 v[192:193], v[23:24], v[192:193]
	v_fma_f64 v[23:24], v[231:232], s[0:1], v[29:30]
	v_add_f64_e64 v[196:197], v[21:22], -v[15:16]
	v_add_f64_e32 v[200:201], v[15:16], v[21:22]
	v_add_f64_e64 v[15:16], v[35:36], -v[206:207]
	v_add_f64_e64 v[21:22], v[172:173], -v[210:211]
	;; [unrolled: 1-line block ×4, first 2 shown]
	v_add_f64_e32 v[178:179], v[182:183], v[239:240]
	v_add_f64_e64 v[182:183], v[239:240], -v[182:183]
	v_add_f64_e32 v[184:185], v[27:28], v[190:191]
	v_add_f64_e64 v[190:191], v[190:191], -v[27:28]
	;; [unrolled: 2-line block ×3, first 2 shown]
	v_add_f64_e64 v[33:34], v[218:219], -v[216:217]
	v_add_f64_e64 v[25:26], v[13:14], -v[15:16]
	s_delay_alu instid0(VALU_DEP_4)
	v_add_f64_e32 v[194:195], v[17:18], v[19:20]
	v_add_f64_e64 v[198:199], v[19:20], -v[17:18]
	v_add_f64_e64 v[17:18], v[31:32], -v[202:203]
	;; [unrolled: 1-line block ×4, first 2 shown]
	v_mul_f64_e32 v[25:26], s[14:15], v[25:26]
	v_mul_f64_e32 v[174:175], s[0:1], v[33:34]
	v_fma_f64 v[224:225], v[229:230], s[10:11], v[9:10]
	ds_store_b128 v228, v[3:6]
	ds_store_b128 v228, v[7:10] offset:208
	ds_store_b128 v228, v[194:197] offset:416
	ds_store_b128 v228, v[184:187] offset:832
	ds_store_b128 v228, v[176:179] offset:1248
	ds_store_b128 v228, v[180:183] offset:1664
	ds_store_b128 v228, v[190:193] offset:2080
	ds_store_b128 v228, v[198:201] offset:2496
	v_add_f64_e64 v[27:28], v[15:16], -v[17:18]
	v_add_f64_e32 v[15:16], v[13:14], v[15:16]
	v_add_f64_e64 v[29:30], v[21:22], -v[19:20]
	v_add_f64_e64 v[31:32], v[19:20], -v[23:24]
	v_add_f64_e32 v[19:20], v[21:22], v[19:20]
	v_mul_f64_e32 v[202:203], s[0:1], v[37:38]
	v_fma_f64 v[174:175], v[35:36], s[12:13], -v[174:175]
	v_add_f64_e64 v[13:14], v[17:18], -v[13:14]
	v_fma_f64 v[204:205], v[27:28], s[2:3], -v[25:26]
	v_add_f64_e32 v[15:16], v[15:16], v[17:18]
	v_mul_f64_e32 v[29:30], s[14:15], v[29:30]
	v_add_f64_e64 v[17:18], v[23:24], -v[21:22]
	v_add_f64_e32 v[19:20], v[19:20], v[23:24]
	v_fma_f64 v[202:203], v[172:173], s[12:13], -v[202:203]
	v_add_f64_e32 v[174:175], v[174:175], v[220:221]
	v_mul_f64_e32 v[21:22], s[2:3], v[27:28]
	v_mul_f64_e32 v[23:24], s[2:3], v[31:32]
	v_fma_f64 v[208:209], v[15:16], s[8:9], v[204:205]
	v_fma_f64 v[204:205], v[31:32], s[2:3], -v[29:30]
	v_add_f64_e32 v[210:211], v[202:203], v[224:225]
	v_fma_f64 v[21:22], v[13:14], s[22:23], -v[21:22]
	v_fma_f64 v[23:24], v[17:18], s[22:23], -v[23:24]
	v_fma_f64 v[13:14], v[13:14], s[16:17], v[25:26]
	v_fma_f64 v[17:18], v[17:18], s[16:17], v[29:30]
	;; [unrolled: 1-line block ×3, first 2 shown]
	v_add_f64_e32 v[204:205], v[208:209], v[210:211]
	v_add_f64_e64 v[208:209], v[210:211], -v[208:209]
	v_add_f64_e64 v[210:211], v[222:223], -v[226:227]
	v_fma_f64 v[21:22], v[15:16], s[8:9], v[21:22]
	v_fma_f64 v[23:24], v[19:20], s[8:9], v[23:24]
	;; [unrolled: 1-line block ×4, first 2 shown]
	v_add_f64_e64 v[202:203], v[174:175], -v[206:207]
	v_add_f64_e32 v[206:207], v[206:207], v[174:175]
	v_add_f64_e64 v[174:175], v[214:215], -v[218:219]
	v_mul_f64_e32 v[31:32], s[18:19], v[210:211]
	s_delay_alu instid0(VALU_DEP_2) | instskip(NEXT) | instid1(VALU_DEP_2)
	v_mul_f64_e32 v[27:28], s[18:19], v[174:175]
	v_fma_f64 v[172:173], v[172:173], s[20:21], -v[31:32]
	s_delay_alu instid0(VALU_DEP_2) | instskip(NEXT) | instid1(VALU_DEP_2)
	v_fma_f64 v[35:36], v[35:36], s[20:21], -v[27:28]
	v_add_f64_e32 v[172:173], v[172:173], v[224:225]
	s_delay_alu instid0(VALU_DEP_2) | instskip(NEXT) | instid1(VALU_DEP_2)
	v_add_f64_e32 v[35:36], v[35:36], v[220:221]
	v_add_f64_e64 v[212:213], v[172:173], -v[21:22]
	v_add_f64_e32 v[216:217], v[21:22], v[172:173]
	v_fma_f64 v[21:22], v[33:34], s[0:1], v[27:28]
	s_delay_alu instid0(VALU_DEP_4) | instskip(SKIP_3) | instid1(VALU_DEP_4)
	v_add_f64_e32 v[210:211], v[23:24], v[35:36]
	v_add_f64_e64 v[214:215], v[35:36], -v[23:24]
	v_fma_f64 v[23:24], v[37:38], s[0:1], v[31:32]
	s_add_nc_u64 s[0:1], s[34:35], 0xb60
	v_add_f64_e32 v[17:18], v[21:22], v[220:221]
	s_delay_alu instid0(VALU_DEP_2) | instskip(NEXT) | instid1(VALU_DEP_2)
	v_add_f64_e32 v[19:20], v[23:24], v[224:225]
	v_add_f64_e32 v[218:219], v[15:16], v[17:18]
	v_add_f64_e64 v[172:173], v[17:18], -v[15:16]
	s_delay_alu instid0(VALU_DEP_3)
	v_add_f64_e64 v[220:221], v[19:20], -v[13:14]
	v_add_f64_e32 v[174:175], v[13:14], v[19:20]
	v_lshl_add_u32 v13, v1, 4, v0
	ds_store_b128 v13, v[218:221] offset:624
	ds_store_b128 v13, v[210:213] offset:1040
	;; [unrolled: 1-line block ×6, first 2 shown]
	global_wb scope:SCOPE_SE
	s_wait_dscnt 0x0
	s_barrier_signal -1
	s_barrier_wait -1
	global_inv scope:SCOPE_SE
	global_load_b128 v[3:6], v[188:189], off offset:2912
	ds_load_b128 v[7:10], v228
	ds_load_b128 v[176:179], v228 offset:224
	s_clause 0x1
	global_load_b128 v[180:183], v2, s[0:1] offset:224
	global_load_b128 v[184:187], v2, s[0:1] offset:448
	s_wait_loadcnt_dscnt 0x201
	v_mul_f64_e32 v[0:1], v[9:10], v[5:6]
	v_mul_f64_e32 v[14:15], v[7:8], v[5:6]
	s_delay_alu instid0(VALU_DEP_2) | instskip(NEXT) | instid1(VALU_DEP_2)
	v_fma_f64 v[5:6], v[7:8], v[3:4], -v[0:1]
	v_fma_f64 v[7:8], v[9:10], v[3:4], v[14:15]
	s_wait_loadcnt_dscnt 0x100
	v_mul_f64_e32 v[0:1], v[178:179], v[182:183]
	v_mul_f64_e32 v[3:4], v[176:177], v[182:183]
	s_delay_alu instid0(VALU_DEP_2) | instskip(NEXT) | instid1(VALU_DEP_2)
	v_fma_f64 v[176:177], v[176:177], v[180:181], -v[0:1]
	v_fma_f64 v[178:179], v[178:179], v[180:181], v[3:4]
	ds_load_b128 v[180:183], v228 offset:448
	ds_load_b128 v[188:191], v228 offset:672
	s_wait_loadcnt_dscnt 0x1
	v_mul_f64_e32 v[0:1], v[182:183], v[186:187]
	v_mul_f64_e32 v[3:4], v[180:181], v[186:187]
	s_delay_alu instid0(VALU_DEP_2) | instskip(NEXT) | instid1(VALU_DEP_2)
	v_fma_f64 v[180:181], v[180:181], v[184:185], -v[0:1]
	v_fma_f64 v[182:183], v[182:183], v[184:185], v[3:4]
	s_clause 0x1
	global_load_b128 v[184:187], v2, s[0:1] offset:672
	global_load_b128 v[192:195], v2, s[0:1] offset:896
	ds_load_b128 v[196:199], v228 offset:896
	ds_load_b128 v[200:203], v228 offset:1120
	s_wait_loadcnt_dscnt 0x102
	v_mul_f64_e32 v[0:1], v[190:191], v[186:187]
	v_mul_f64_e32 v[3:4], v[188:189], v[186:187]
	s_delay_alu instid0(VALU_DEP_2) | instskip(SKIP_2) | instid1(VALU_DEP_3)
	v_fma_f64 v[186:187], v[188:189], v[184:185], -v[0:1]
	s_wait_loadcnt_dscnt 0x1
	v_mul_f64_e32 v[0:1], v[198:199], v[194:195]
	v_fma_f64 v[188:189], v[190:191], v[184:185], v[3:4]
	v_mul_f64_e32 v[3:4], v[196:197], v[194:195]
	s_delay_alu instid0(VALU_DEP_3)
	v_fma_f64 v[190:191], v[196:197], v[192:193], -v[0:1]
	s_clause 0x1
	global_load_b128 v[194:197], v2, s[0:1] offset:1120
	global_load_b128 v[204:207], v2, s[0:1] offset:1344
	v_fma_f64 v[192:193], v[198:199], v[192:193], v[3:4]
	s_wait_loadcnt_dscnt 0x100
	v_mul_f64_e32 v[0:1], v[202:203], v[196:197]
	v_mul_f64_e32 v[3:4], v[200:201], v[196:197]
	s_delay_alu instid0(VALU_DEP_2) | instskip(NEXT) | instid1(VALU_DEP_2)
	v_fma_f64 v[196:197], v[200:201], v[194:195], -v[0:1]
	v_fma_f64 v[198:199], v[202:203], v[194:195], v[3:4]
	ds_load_b128 v[200:203], v228 offset:1344
	ds_load_b128 v[208:211], v228 offset:1568
	s_wait_loadcnt_dscnt 0x1
	v_mul_f64_e32 v[0:1], v[202:203], v[206:207]
	v_mul_f64_e32 v[3:4], v[200:201], v[206:207]
	s_delay_alu instid0(VALU_DEP_2) | instskip(NEXT) | instid1(VALU_DEP_2)
	v_fma_f64 v[200:201], v[200:201], v[204:205], -v[0:1]
	v_fma_f64 v[202:203], v[202:203], v[204:205], v[3:4]
	s_clause 0x1
	global_load_b128 v[204:207], v2, s[0:1] offset:1568
	global_load_b128 v[212:215], v2, s[0:1] offset:1792
	ds_load_b128 v[216:219], v228 offset:1792
	ds_load_b128 v[220:223], v228 offset:2016
	s_wait_loadcnt_dscnt 0x102
	v_mul_f64_e32 v[0:1], v[210:211], v[206:207]
	v_mul_f64_e32 v[3:4], v[208:209], v[206:207]
	s_delay_alu instid0(VALU_DEP_2) | instskip(SKIP_2) | instid1(VALU_DEP_3)
	v_fma_f64 v[206:207], v[208:209], v[204:205], -v[0:1]
	s_wait_loadcnt_dscnt 0x1
	v_mul_f64_e32 v[0:1], v[218:219], v[214:215]
	v_fma_f64 v[208:209], v[210:211], v[204:205], v[3:4]
	v_mul_f64_e32 v[3:4], v[216:217], v[214:215]
	s_delay_alu instid0(VALU_DEP_3)
	v_fma_f64 v[210:211], v[216:217], v[212:213], -v[0:1]
	s_clause 0x1
	global_load_b128 v[214:217], v2, s[0:1] offset:2016
	global_load_b128 v[224:227], v2, s[0:1] offset:2240
	v_fma_f64 v[212:213], v[218:219], v[212:213], v[3:4]
	s_wait_loadcnt_dscnt 0x100
	v_mul_f64_e32 v[0:1], v[222:223], v[216:217]
	v_mul_f64_e32 v[3:4], v[220:221], v[216:217]
	s_delay_alu instid0(VALU_DEP_2) | instskip(NEXT) | instid1(VALU_DEP_2)
	v_fma_f64 v[216:217], v[220:221], v[214:215], -v[0:1]
	v_fma_f64 v[218:219], v[222:223], v[214:215], v[3:4]
	ds_load_b128 v[220:223], v228 offset:2240
	ds_load_b128 v[229:232], v228 offset:2464
	s_wait_loadcnt_dscnt 0x1
	v_mul_f64_e32 v[0:1], v[222:223], v[226:227]
	v_mul_f64_e32 v[3:4], v[220:221], v[226:227]
	s_delay_alu instid0(VALU_DEP_2) | instskip(NEXT) | instid1(VALU_DEP_2)
	v_fma_f64 v[220:221], v[220:221], v[224:225], -v[0:1]
	v_fma_f64 v[222:223], v[222:223], v[224:225], v[3:4]
	s_clause 0x1
	global_load_b128 v[224:227], v2, s[0:1] offset:2464
	global_load_b128 v[0:3], v2, s[0:1] offset:2688
	s_wait_loadcnt_dscnt 0x100
	v_mul_f64_e32 v[9:10], v[231:232], v[226:227]
	v_mul_f64_e32 v[14:15], v[229:230], v[226:227]
	s_delay_alu instid0(VALU_DEP_2) | instskip(NEXT) | instid1(VALU_DEP_2)
	v_fma_f64 v[229:230], v[229:230], v[224:225], -v[9:10]
	v_fma_f64 v[231:232], v[231:232], v[224:225], v[14:15]
	ds_load_b128 v[224:227], v228 offset:2688
	s_wait_loadcnt_dscnt 0x0
	v_mul_f64_e32 v[9:10], v[226:227], v[2:3]
	v_mul_f64_e32 v[2:3], v[224:225], v[2:3]
	s_delay_alu instid0(VALU_DEP_2) | instskip(NEXT) | instid1(VALU_DEP_2)
	v_fma_f64 v[224:225], v[224:225], v[0:1], -v[9:10]
	v_fma_f64 v[226:227], v[226:227], v[0:1], v[2:3]
	ds_store_b128 v228, v[5:8]
	ds_store_b128 v228, v[176:179] offset:224
	ds_store_b128 v228, v[180:183] offset:448
	;; [unrolled: 1-line block ×12, first 2 shown]
	s_and_saveexec_b32 s24, vcc_lo
	s_cbranch_execz .LBB0_9
; %bb.8:
	s_load_b128 s[0:3], s[34:35], 0xc30
	ds_load_b128 v[0:3], v255 offset:208
	ds_load_b128 v[4:7], v255 offset:432
	s_clause 0x1
	s_load_b128 s[8:11], s[34:35], 0xd10
	s_load_b128 s[12:15], s[34:35], 0xdf0
	ds_load_b128 v[8:11], v255 offset:656
	ds_load_b128 v[176:179], v255 offset:880
	s_clause 0x1
	s_load_b128 s[20:23], s[34:35], 0xed0
	s_load_b128 s[16:19], s[34:35], 0xfb0
	ds_load_b128 v[180:183], v255 offset:1104
	ds_load_b128 v[184:187], v255 offset:1328
	s_load_b128 s[28:31], s[34:35], 0x1090
	ds_load_b128 v[188:191], v255 offset:1552
	ds_load_b128 v[192:195], v255 offset:1776
	;; [unrolled: 1-line block ×3, first 2 shown]
	s_wait_dscnt 0x8
	s_wait_kmcnt 0x0
	v_mul_f64_e32 v[14:15], s[2:3], v[2:3]
	v_mul_f64_e32 v[16:17], s[2:3], v[0:1]
	s_wait_dscnt 0x7
	v_mul_f64_e32 v[18:19], s[10:11], v[6:7]
	v_mul_f64_e32 v[20:21], s[10:11], v[4:5]
	s_wait_dscnt 0x6
	;; [unrolled: 3-line block ×3, first 2 shown]
	v_mul_f64_e32 v[26:27], s[22:23], v[178:179]
	v_mul_f64_e32 v[28:29], s[22:23], v[176:177]
	v_fma_f64 v[0:1], v[0:1], s[0:1], -v[14:15]
	v_fma_f64 v[2:3], v[2:3], s[0:1], v[16:17]
	s_wait_dscnt 0x4
	v_mul_f64_e32 v[14:15], s[18:19], v[182:183]
	v_mul_f64_e32 v[16:17], s[18:19], v[180:181]
	s_load_b128 s[0:3], s[34:35], 0x1170
	v_fma_f64 v[4:5], v[4:5], s[8:9], -v[18:19]
	v_fma_f64 v[6:7], v[6:7], s[8:9], v[20:21]
	s_wait_dscnt 0x3
	v_mul_f64_e32 v[18:19], s[30:31], v[186:187]
	v_fma_f64 v[8:9], v[8:9], s[12:13], -v[22:23]
	v_fma_f64 v[10:11], v[10:11], s[12:13], v[24:25]
	v_mul_f64_e32 v[20:21], s[30:31], v[184:185]
	s_load_b128 s[8:11], s[34:35], 0x1250
	v_fma_f64 v[176:177], v[176:177], s[20:21], -v[26:27]
	v_fma_f64 v[178:179], v[178:179], s[20:21], v[28:29]
	v_fma_f64 v[180:181], v[180:181], s[16:17], -v[14:15]
	v_fma_f64 v[182:183], v[182:183], s[16:17], v[16:17]
	s_wait_dscnt 0x2
	s_wait_kmcnt 0x0
	v_mul_f64_e32 v[14:15], s[2:3], v[190:191]
	v_mul_f64_e32 v[16:17], s[2:3], v[188:189]
	v_fma_f64 v[184:185], v[184:185], s[28:29], -v[18:19]
	s_wait_dscnt 0x1
	v_mul_f64_e32 v[18:19], s[10:11], v[194:195]
	v_fma_f64 v[186:187], v[186:187], s[28:29], v[20:21]
	v_mul_f64_e32 v[20:21], s[10:11], v[192:193]
	v_fma_f64 v[188:189], v[188:189], s[0:1], -v[14:15]
	v_fma_f64 v[190:191], v[190:191], s[0:1], v[16:17]
	s_clause 0x1
	s_load_b128 s[0:3], s[34:35], 0x1330
	s_load_b128 s[12:15], s[34:35], 0x1410
	ds_load_b128 v[200:203], v255 offset:2224
	v_fma_f64 v[192:193], v[192:193], s[8:9], -v[18:19]
	v_fma_f64 v[194:195], v[194:195], s[8:9], v[20:21]
	s_wait_dscnt 0x1
	s_wait_kmcnt 0x0
	v_mul_f64_e32 v[14:15], s[2:3], v[198:199]
	v_mul_f64_e32 v[16:17], s[2:3], v[196:197]
	s_delay_alu instid0(VALU_DEP_2) | instskip(NEXT) | instid1(VALU_DEP_2)
	v_fma_f64 v[196:197], v[196:197], s[0:1], -v[14:15]
	v_fma_f64 v[198:199], v[198:199], s[0:1], v[16:17]
	s_wait_dscnt 0x0
	v_mul_f64_e32 v[14:15], s[14:15], v[202:203]
	v_mul_f64_e32 v[16:17], s[14:15], v[200:201]
	s_clause 0x1
	s_load_b128 s[0:3], s[34:35], 0x14f0
	s_load_b128 s[8:11], s[34:35], 0x15d0
	ds_load_b128 v[204:207], v255 offset:2448
	ds_load_b128 v[208:211], v255 offset:2672
	;; [unrolled: 1-line block ×3, first 2 shown]
	v_fma_f64 v[200:201], v[200:201], s[12:13], -v[14:15]
	v_fma_f64 v[202:203], v[202:203], s[12:13], v[16:17]
	s_wait_dscnt 0x2
	s_wait_kmcnt 0x0
	v_mul_f64_e32 v[14:15], s[2:3], v[206:207]
	v_mul_f64_e32 v[16:17], s[2:3], v[204:205]
	s_delay_alu instid0(VALU_DEP_2) | instskip(NEXT) | instid1(VALU_DEP_2)
	v_fma_f64 v[204:205], v[204:205], s[0:1], -v[14:15]
	v_fma_f64 v[206:207], v[206:207], s[0:1], v[16:17]
	s_wait_dscnt 0x1
	v_mul_f64_e32 v[14:15], s[10:11], v[210:211]
	v_mul_f64_e32 v[16:17], s[10:11], v[208:209]
	s_load_b128 s[0:3], s[34:35], 0x16b0
	s_delay_alu instid0(VALU_DEP_2) | instskip(NEXT) | instid1(VALU_DEP_2)
	v_fma_f64 v[208:209], v[208:209], s[8:9], -v[14:15]
	v_fma_f64 v[210:211], v[210:211], s[8:9], v[16:17]
	s_wait_dscnt 0x0
	s_wait_kmcnt 0x0
	v_mul_f64_e32 v[14:15], s[2:3], v[214:215]
	v_mul_f64_e32 v[16:17], s[2:3], v[212:213]
	s_delay_alu instid0(VALU_DEP_2) | instskip(NEXT) | instid1(VALU_DEP_2)
	v_fma_f64 v[212:213], v[212:213], s[0:1], -v[14:15]
	v_fma_f64 v[214:215], v[214:215], s[0:1], v[16:17]
	ds_store_b128 v255, v[0:3] offset:208
	ds_store_b128 v255, v[4:7] offset:432
	;; [unrolled: 1-line block ×13, first 2 shown]
.LBB0_9:
	s_wait_alu 0xfffe
	s_or_b32 exec_lo, exec_lo, s24
	global_wb scope:SCOPE_SE
	s_wait_dscnt 0x0
	s_barrier_signal -1
	s_barrier_wait -1
	global_inv scope:SCOPE_SE
	ds_load_b128 v[176:179], v228
	ds_load_b128 v[180:183], v228 offset:224
	ds_load_b128 v[184:187], v228 offset:448
	;; [unrolled: 1-line block ×12, first 2 shown]
	s_and_saveexec_b32 s0, vcc_lo
	s_cbranch_execz .LBB0_11
; %bb.10:
	ds_load_b128 v[172:175], v255 offset:208
	ds_load_b128 v[0:3], v255 offset:432
	s_wait_dscnt 0x0
	scratch_store_b128 off, v[0:3], off offset:4 ; 16-byte Folded Spill
	ds_load_b128 v[0:3], v255 offset:656
	s_wait_dscnt 0x0
	scratch_store_b128 off, v[0:3], off offset:20 ; 16-byte Folded Spill
	ds_load_b128 v[76:79], v255 offset:880
	ds_load_b128 v[84:87], v255 offset:1104
	;; [unrolled: 1-line block ×10, first 2 shown]
.LBB0_11:
	s_wait_alu 0xfffe
	s_or_b32 exec_lo, exec_lo, s0
	s_wait_dscnt 0xb
	v_add_f64_e32 v[0:1], v[176:177], v[180:181]
	v_add_f64_e32 v[2:3], v[178:179], v[182:183]
	s_wait_dscnt 0x0
	v_add_f64_e64 v[4:5], v[182:183], -v[190:191]
	s_mov_b32 s42, 0x4267c47c
	s_mov_b32 s22, 0x42a4c3d2
	s_mov_b32 s20, 0x66966769
	s_mov_b32 s18, 0x2ef20147
	s_mov_b32 s16, 0x24c2f84
	s_mov_b32 s10, 0x4bc48dbf
	s_mov_b32 s43, 0xbfddbe06
	s_mov_b32 s23, 0xbfea55e2
	s_mov_b32 s21, 0xbfefc445
	s_mov_b32 s19, 0xbfedeba7
	s_mov_b32 s17, 0xbfe5384d
	s_mov_b32 s11, 0xbfcea1e5
	v_add_f64_e32 v[6:7], v[180:181], v[188:189]
	v_add_f64_e32 v[8:9], v[182:183], v[190:191]
	v_add_f64_e64 v[10:11], v[180:181], -v[188:189]
	s_mov_b32 s24, 0xe00740e9
	s_mov_b32 s14, 0x1ea71119
	;; [unrolled: 1-line block ×13, first 2 shown]
	s_wait_alu 0xfffe
	s_mov_b32 s38, s22
	v_add_f64_e64 v[247:248], v[186:187], -v[198:199]
	s_mov_b32 s29, 0x3fefc445
	s_mov_b32 s37, 0x3fedeba7
	;; [unrolled: 1-line block ×4, first 2 shown]
	v_add_f64_e32 v[237:238], v[194:195], v[202:203]
	v_add_f64_e32 v[0:1], v[0:1], v[184:185]
	v_add_f64_e32 v[2:3], v[2:3], v[186:187]
	v_mul_f64_e32 v[14:15], s[20:21], v[4:5]
	v_mul_f64_e32 v[16:17], s[18:19], v[4:5]
	;; [unrolled: 1-line block ×3, first 2 shown]
	v_add_f64_e64 v[239:240], v[194:195], -v[202:203]
	v_add_f64_e32 v[241:242], v[186:187], v[198:199]
	s_mov_b32 s27, 0x3fddbe06
	s_mov_b32 s31, 0x3fe5384d
	;; [unrolled: 1-line block ×4, first 2 shown]
	v_add_f64_e32 v[231:232], v[226:227], v[222:223]
	s_mov_b32 s41, 0x3fcea1e5
	s_mov_b32 s40, s10
	v_add_f64_e32 v[229:230], v[224:225], v[220:221]
	global_wb scope:SCOPE_SE
	s_wait_storecnt 0x0
	v_mul_f64_e32 v[34:35], s[12:13], v[8:9]
	v_mul_f64_e32 v[36:37], s[8:9], v[8:9]
	;; [unrolled: 1-line block ×3, first 2 shown]
	s_barrier_signal -1
	s_barrier_wait -1
	global_inv scope:SCOPE_SE
	v_add_f64_e32 v[0:1], v[0:1], v[192:193]
	v_add_f64_e32 v[2:3], v[2:3], v[194:195]
	v_fma_f64 v[24:25], v[6:7], s[12:13], v[14:15]
	v_fma_f64 v[14:15], v[6:7], s[12:13], -v[14:15]
	v_fma_f64 v[26:27], v[6:7], s[8:9], v[16:17]
	v_fma_f64 v[16:17], v[6:7], s[8:9], -v[16:17]
	;; [unrolled: 2-line block ×3, first 2 shown]
	v_add_f64_e32 v[194:195], v[184:185], v[196:197]
	v_add_f64_e64 v[184:185], v[184:185], -v[196:197]
	v_mul_f64_e32 v[58:59], s[12:13], v[231:232]
	v_add_f64_e32 v[0:1], v[0:1], v[204:205]
	v_add_f64_e32 v[2:3], v[2:3], v[206:207]
	v_add_f64_e32 v[24:25], v[176:177], v[24:25]
	v_add_f64_e32 v[48:49], v[176:177], v[14:15]
	v_add_f64_e32 v[50:51], v[176:177], v[26:27]
	v_add_f64_e32 v[0:1], v[0:1], v[212:213]
	v_add_f64_e32 v[2:3], v[2:3], v[214:215]
	s_delay_alu instid0(VALU_DEP_2) | instskip(NEXT) | instid1(VALU_DEP_2)
	v_add_f64_e32 v[233:234], v[0:1], v[224:225]
	v_add_f64_e32 v[235:236], v[2:3], v[226:227]
	v_add_f64_e64 v[226:227], v[226:227], -v[222:223]
	v_add_f64_e64 v[224:225], v[224:225], -v[220:221]
	s_delay_alu instid0(VALU_DEP_4) | instskip(NEXT) | instid1(VALU_DEP_4)
	v_add_f64_e32 v[0:1], v[233:234], v[220:221]
	v_add_f64_e32 v[2:3], v[235:236], v[222:223]
	;; [unrolled: 1-line block ×3, first 2 shown]
	v_add_f64_e64 v[233:234], v[214:215], -v[218:219]
	v_add_f64_e64 v[235:236], v[206:207], -v[210:211]
	v_add_f64_e32 v[214:215], v[204:205], v[208:209]
	v_add_f64_e64 v[204:205], v[204:205], -v[208:209]
	v_add_f64_e32 v[220:221], v[212:213], v[216:217]
	v_add_f64_e64 v[212:213], v[212:213], -v[216:217]
	v_mul_f64_e32 v[249:250], s[10:11], v[226:227]
	v_add_f64_e32 v[0:1], v[0:1], v[216:217]
	v_add_f64_e32 v[2:3], v[2:3], v[218:219]
	;; [unrolled: 1-line block ×4, first 2 shown]
	v_add_f64_e64 v[192:193], v[192:193], -v[200:201]
	v_mul_f64_e32 v[216:217], s[2:3], v[222:223]
	v_add_f64_e32 v[0:1], v[0:1], v[208:209]
	v_add_f64_e32 v[2:3], v[2:3], v[210:211]
	s_delay_alu instid0(VALU_DEP_2) | instskip(NEXT) | instid1(VALU_DEP_2)
	v_add_f64_e32 v[0:1], v[0:1], v[200:201]
	v_add_f64_e32 v[2:3], v[2:3], v[202:203]
	s_wait_alu 0xfffe
	v_fma_f64 v[200:201], v[10:11], s[30:31], v[38:39]
	v_fma_f64 v[38:39], v[10:11], s[16:17], v[38:39]
	s_delay_alu instid0(VALU_DEP_4) | instskip(NEXT) | instid1(VALU_DEP_4)
	v_add_f64_e32 v[0:1], v[0:1], v[196:197]
	v_add_f64_e32 v[2:3], v[2:3], v[198:199]
	v_fma_f64 v[196:197], v[10:11], s[28:29], v[34:35]
	v_fma_f64 v[198:199], v[10:11], s[36:37], v[36:37]
	;; [unrolled: 1-line block ×4, first 2 shown]
	v_add_f64_e32 v[180:181], v[0:1], v[188:189]
	v_add_f64_e32 v[182:183], v[2:3], v[190:191]
	v_mul_f64_e32 v[0:1], s[42:43], v[4:5]
	v_mul_f64_e32 v[2:3], s[22:23], v[4:5]
	;; [unrolled: 1-line block ×3, first 2 shown]
	v_add_f64_e32 v[46:47], v[178:179], v[196:197]
	v_add_f64_e32 v[52:53], v[178:179], v[198:199]
	v_mul_f64_e32 v[196:197], s[14:15], v[241:242]
	v_mul_f64_e32 v[198:199], s[20:21], v[239:240]
	v_add_f64_e32 v[34:35], v[178:179], v[34:35]
	v_fma_f64 v[20:21], v[6:7], s[24:25], v[0:1]
	v_fma_f64 v[0:1], v[6:7], s[24:25], -v[0:1]
	v_fma_f64 v[22:23], v[6:7], s[14:15], v[2:3]
	v_fma_f64 v[2:3], v[6:7], s[14:15], -v[2:3]
	v_fma_f64 v[30:31], v[6:7], s[0:1], v[4:5]
	v_fma_f64 v[32:33], v[6:7], s[0:1], -v[4:5]
	v_mul_f64_e32 v[6:7], s[14:15], v[8:9]
	v_mul_f64_e32 v[4:5], s[24:25], v[8:9]
	;; [unrolled: 1-line block ×3, first 2 shown]
	v_add_f64_e32 v[20:21], v[176:177], v[20:21]
	v_add_f64_e32 v[22:23], v[176:177], v[22:23]
	;; [unrolled: 1-line block ×4, first 2 shown]
	v_fma_f64 v[18:19], v[206:207], s[12:13], v[198:199]
	v_fma_f64 v[190:191], v[10:11], s[38:39], v[6:7]
	;; [unrolled: 1-line block ×7, first 2 shown]
	v_add_f64_e32 v[10:11], v[176:177], v[16:17]
	v_fma_f64 v[16:17], v[184:185], s[38:39], v[196:197]
	v_add_f64_e32 v[253:254], v[176:177], v[30:31]
	v_add_f64_e32 v[245:246], v[176:177], v[32:33]
	;; [unrolled: 1-line block ×4, first 2 shown]
	v_mul_f64_e32 v[190:191], s[22:23], v[247:248]
	v_add_f64_e32 v[210:211], v[178:179], v[186:187]
	v_add_f64_e32 v[188:189], v[178:179], v[4:5]
	;; [unrolled: 1-line block ×3, first 2 shown]
	v_mul_f64_e32 v[200:201], s[12:13], v[237:238]
	v_add_f64_e32 v[251:252], v[178:179], v[202:203]
	v_mul_f64_e32 v[202:203], s[18:19], v[235:236]
	v_add_f64_e32 v[243:244], v[178:179], v[208:209]
	;; [unrolled: 2-line block ×3, first 2 shown]
	v_add_f64_e32 v[0:1], v[178:179], v[38:39]
	v_mul_f64_e32 v[38:39], s[0:1], v[231:232]
	v_add_f64_e32 v[44:45], v[178:179], v[6:7]
	v_add_f64_e32 v[6:7], v[176:177], v[28:29]
	v_fma_f64 v[14:15], v[194:195], s[14:15], v[190:191]
	v_add_f64_e32 v[16:17], v[16:17], v[210:211]
	v_mul_f64_e32 v[210:211], s[16:17], v[233:234]
	s_delay_alu instid0(VALU_DEP_3) | instskip(SKIP_1) | instid1(VALU_DEP_2)
	v_add_f64_e32 v[14:15], v[14:15], v[20:21]
	v_mul_f64_e32 v[20:21], s[8:9], v[241:242]
	v_add_f64_e32 v[14:15], v[18:19], v[14:15]
	v_fma_f64 v[18:19], v[192:193], s[28:29], v[200:201]
	s_delay_alu instid0(VALU_DEP_1) | instskip(SKIP_1) | instid1(VALU_DEP_1)
	v_add_f64_e32 v[16:17], v[18:19], v[16:17]
	v_fma_f64 v[18:19], v[214:215], s[8:9], v[202:203]
	v_add_f64_e32 v[14:15], v[18:19], v[14:15]
	v_fma_f64 v[18:19], v[204:205], s[36:37], v[208:209]
	s_delay_alu instid0(VALU_DEP_1) | instskip(SKIP_1) | instid1(VALU_DEP_1)
	v_add_f64_e32 v[16:17], v[18:19], v[16:17]
	v_fma_f64 v[18:19], v[220:221], s[2:3], v[210:211]
	;; [unrolled: 5-line block ×3, first 2 shown]
	v_add_f64_e32 v[176:177], v[18:19], v[14:15]
	v_fma_f64 v[14:15], v[224:225], s[40:41], v[38:39]
	v_mul_f64_e32 v[18:19], s[18:19], v[247:248]
	v_fma_f64 v[38:39], v[224:225], s[10:11], v[38:39]
	s_delay_alu instid0(VALU_DEP_3) | instskip(NEXT) | instid1(VALU_DEP_3)
	v_add_f64_e32 v[178:179], v[14:15], v[16:17]
	v_fma_f64 v[14:15], v[194:195], s[8:9], v[18:19]
	v_fma_f64 v[16:17], v[184:185], s[36:37], v[20:21]
	v_fma_f64 v[18:19], v[194:195], s[8:9], -v[18:19]
	v_fma_f64 v[20:21], v[184:185], s[18:19], v[20:21]
	s_delay_alu instid0(VALU_DEP_4) | instskip(SKIP_4) | instid1(VALU_DEP_4)
	v_add_f64_e32 v[14:15], v[14:15], v[22:23]
	v_mul_f64_e32 v[22:23], s[10:11], v[239:240]
	v_add_f64_e32 v[16:17], v[16:17], v[40:41]
	v_add_f64_e32 v[18:19], v[18:19], v[42:43]
	;; [unrolled: 1-line block ×3, first 2 shown]
	v_fma_f64 v[26:27], v[206:207], s[0:1], v[22:23]
	v_fma_f64 v[22:23], v[206:207], s[0:1], -v[22:23]
	s_delay_alu instid0(VALU_DEP_2) | instskip(SKIP_1) | instid1(VALU_DEP_3)
	v_add_f64_e32 v[14:15], v[26:27], v[14:15]
	v_mul_f64_e32 v[26:27], s[0:1], v[237:238]
	v_add_f64_e32 v[18:19], v[22:23], v[18:19]
	s_delay_alu instid0(VALU_DEP_2) | instskip(SKIP_1) | instid1(VALU_DEP_2)
	v_fma_f64 v[28:29], v[192:193], s[40:41], v[26:27]
	v_fma_f64 v[22:23], v[192:193], s[10:11], v[26:27]
	v_add_f64_e32 v[16:17], v[28:29], v[16:17]
	v_mul_f64_e32 v[28:29], s[30:31], v[235:236]
	s_delay_alu instid0(VALU_DEP_3) | instskip(NEXT) | instid1(VALU_DEP_2)
	v_add_f64_e32 v[20:21], v[22:23], v[20:21]
	v_fma_f64 v[30:31], v[214:215], s[2:3], v[28:29]
	v_fma_f64 v[22:23], v[214:215], s[2:3], -v[28:29]
	v_mul_f64_e32 v[28:29], s[0:1], v[241:242]
	s_delay_alu instid0(VALU_DEP_3) | instskip(SKIP_1) | instid1(VALU_DEP_4)
	v_add_f64_e32 v[14:15], v[30:31], v[14:15]
	v_mul_f64_e32 v[30:31], s[2:3], v[218:219]
	v_add_f64_e32 v[18:19], v[22:23], v[18:19]
	s_delay_alu instid0(VALU_DEP_2) | instskip(SKIP_2) | instid1(VALU_DEP_3)
	v_fma_f64 v[32:33], v[204:205], s[16:17], v[30:31]
	v_fma_f64 v[22:23], v[204:205], s[30:31], v[30:31]
	v_mul_f64_e32 v[30:31], s[36:37], v[239:240]
	v_add_f64_e32 v[16:17], v[32:33], v[16:17]
	v_mul_f64_e32 v[32:33], s[28:29], v[233:234]
	s_delay_alu instid0(VALU_DEP_4) | instskip(NEXT) | instid1(VALU_DEP_2)
	v_add_f64_e32 v[20:21], v[22:23], v[20:21]
	v_fma_f64 v[36:37], v[220:221], s[12:13], v[32:33]
	v_fma_f64 v[22:23], v[220:221], s[12:13], -v[32:33]
	v_fma_f64 v[32:33], v[206:207], s[8:9], v[30:31]
	v_fma_f64 v[30:31], v[206:207], s[8:9], -v[30:31]
	s_delay_alu instid0(VALU_DEP_4) | instskip(SKIP_2) | instid1(VALU_DEP_2)
	v_add_f64_e32 v[14:15], v[36:37], v[14:15]
	v_mul_f64_e32 v[36:37], s[12:13], v[222:223]
	v_add_f64_e32 v[18:19], v[22:23], v[18:19]
	v_fma_f64 v[40:41], v[212:213], s[20:21], v[36:37]
	v_fma_f64 v[22:23], v[212:213], s[28:29], v[36:37]
	s_delay_alu instid0(VALU_DEP_2) | instskip(SKIP_1) | instid1(VALU_DEP_3)
	v_add_f64_e32 v[16:17], v[40:41], v[16:17]
	v_mul_f64_e32 v[40:41], s[26:27], v[226:227]
	v_add_f64_e32 v[20:21], v[22:23], v[20:21]
	s_delay_alu instid0(VALU_DEP_2) | instskip(SKIP_1) | instid1(VALU_DEP_2)
	v_fma_f64 v[54:55], v[229:230], s[24:25], v[40:41]
	v_fma_f64 v[22:23], v[229:230], s[24:25], -v[40:41]
	v_add_f64_e32 v[14:15], v[54:55], v[14:15]
	v_mul_f64_e32 v[54:55], s[24:25], v[231:232]
	s_delay_alu instid0(VALU_DEP_3) | instskip(NEXT) | instid1(VALU_DEP_2)
	v_add_f64_e32 v[18:19], v[22:23], v[18:19]
	v_fma_f64 v[26:27], v[224:225], s[26:27], v[54:55]
	v_fma_f64 v[56:57], v[224:225], s[42:43], v[54:55]
	s_delay_alu instid0(VALU_DEP_2) | instskip(SKIP_1) | instid1(VALU_DEP_3)
	v_add_f64_e32 v[20:21], v[26:27], v[20:21]
	v_mul_f64_e32 v[26:27], s[10:11], v[247:248]
	v_add_f64_e32 v[16:17], v[56:57], v[16:17]
	s_delay_alu instid0(VALU_DEP_2) | instskip(SKIP_1) | instid1(VALU_DEP_2)
	v_fma_f64 v[22:23], v[194:195], s[0:1], v[26:27]
	v_fma_f64 v[26:27], v[194:195], s[0:1], -v[26:27]
	v_add_f64_e32 v[22:23], v[22:23], v[24:25]
	v_fma_f64 v[24:25], v[184:185], s[40:41], v[28:29]
	s_delay_alu instid0(VALU_DEP_3) | instskip(SKIP_1) | instid1(VALU_DEP_4)
	v_add_f64_e32 v[26:27], v[26:27], v[48:49]
	v_fma_f64 v[28:29], v[184:185], s[10:11], v[28:29]
	v_add_f64_e32 v[22:23], v[32:33], v[22:23]
	v_mul_f64_e32 v[32:33], s[8:9], v[237:238]
	v_add_f64_e32 v[24:25], v[24:25], v[46:47]
	s_delay_alu instid0(VALU_DEP_4) | instskip(SKIP_4) | instid1(VALU_DEP_2)
	v_add_f64_e32 v[28:29], v[28:29], v[34:35]
	v_add_f64_e32 v[26:27], v[30:31], v[26:27]
	v_mul_f64_e32 v[34:35], s[30:31], v[247:248]
	v_fma_f64 v[36:37], v[192:193], s[18:19], v[32:33]
	v_fma_f64 v[30:31], v[192:193], s[36:37], v[32:33]
	v_add_f64_e32 v[24:25], v[36:37], v[24:25]
	v_mul_f64_e32 v[36:37], s[26:27], v[235:236]
	s_delay_alu instid0(VALU_DEP_3) | instskip(NEXT) | instid1(VALU_DEP_2)
	v_add_f64_e32 v[28:29], v[30:31], v[28:29]
	v_fma_f64 v[40:41], v[214:215], s[24:25], v[36:37]
	v_fma_f64 v[30:31], v[214:215], s[24:25], -v[36:37]
	v_mul_f64_e32 v[36:37], s[2:3], v[241:242]
	s_delay_alu instid0(VALU_DEP_3) | instskip(SKIP_1) | instid1(VALU_DEP_4)
	v_add_f64_e32 v[22:23], v[40:41], v[22:23]
	v_mul_f64_e32 v[40:41], s[24:25], v[218:219]
	v_add_f64_e32 v[26:27], v[30:31], v[26:27]
	s_delay_alu instid0(VALU_DEP_2) | instskip(SKIP_2) | instid1(VALU_DEP_3)
	v_fma_f64 v[42:43], v[204:205], s[42:43], v[40:41]
	v_fma_f64 v[30:31], v[204:205], s[26:27], v[40:41]
	v_mul_f64_e32 v[40:41], s[26:27], v[239:240]
	v_add_f64_e32 v[24:25], v[42:43], v[24:25]
	v_mul_f64_e32 v[42:43], s[22:23], v[233:234]
	s_delay_alu instid0(VALU_DEP_4) | instskip(NEXT) | instid1(VALU_DEP_2)
	v_add_f64_e32 v[28:29], v[30:31], v[28:29]
	v_fma_f64 v[44:45], v[220:221], s[14:15], v[42:43]
	v_fma_f64 v[30:31], v[220:221], s[14:15], -v[42:43]
	v_fma_f64 v[42:43], v[206:207], s[24:25], v[40:41]
	s_delay_alu instid0(VALU_DEP_3) | instskip(SKIP_1) | instid1(VALU_DEP_4)
	v_add_f64_e32 v[22:23], v[44:45], v[22:23]
	v_mul_f64_e32 v[44:45], s[14:15], v[222:223]
	v_add_f64_e32 v[26:27], v[30:31], v[26:27]
	s_delay_alu instid0(VALU_DEP_2) | instskip(SKIP_1) | instid1(VALU_DEP_2)
	v_fma_f64 v[46:47], v[212:213], s[38:39], v[44:45]
	v_fma_f64 v[30:31], v[212:213], s[22:23], v[44:45]
	v_add_f64_e32 v[24:25], v[46:47], v[24:25]
	v_mul_f64_e32 v[46:47], s[16:17], v[226:227]
	s_delay_alu instid0(VALU_DEP_3) | instskip(NEXT) | instid1(VALU_DEP_2)
	v_add_f64_e32 v[28:29], v[30:31], v[28:29]
	v_fma_f64 v[54:55], v[229:230], s[2:3], v[46:47]
	v_fma_f64 v[30:31], v[229:230], s[2:3], -v[46:47]
	s_delay_alu instid0(VALU_DEP_2) | instskip(SKIP_1) | instid1(VALU_DEP_3)
	v_add_f64_e32 v[22:23], v[54:55], v[22:23]
	v_mul_f64_e32 v[54:55], s[2:3], v[231:232]
	v_add_f64_e32 v[26:27], v[30:31], v[26:27]
	v_fma_f64 v[30:31], v[194:195], s[2:3], v[34:35]
	v_fma_f64 v[34:35], v[194:195], s[2:3], -v[34:35]
	s_delay_alu instid0(VALU_DEP_4) | instskip(SKIP_1) | instid1(VALU_DEP_4)
	v_fma_f64 v[32:33], v[224:225], s[16:17], v[54:55]
	v_fma_f64 v[56:57], v[224:225], s[30:31], v[54:55]
	v_add_f64_e32 v[30:31], v[30:31], v[50:51]
	s_delay_alu instid0(VALU_DEP_4)
	v_add_f64_e32 v[10:11], v[34:35], v[10:11]
	v_fma_f64 v[34:35], v[184:185], s[30:31], v[36:37]
	v_add_f64_e32 v[28:29], v[32:33], v[28:29]
	v_fma_f64 v[32:33], v[184:185], s[16:17], v[36:37]
	v_add_f64_e32 v[30:31], v[42:43], v[30:31]
	v_mul_f64_e32 v[42:43], s[24:25], v[237:238]
	v_add_f64_e32 v[8:9], v[34:35], v[8:9]
	v_fma_f64 v[34:35], v[206:207], s[24:25], -v[40:41]
	v_mul_f64_e32 v[40:41], s[28:29], v[247:248]
	v_add_f64_e32 v[24:25], v[56:57], v[24:25]
	v_add_f64_e32 v[32:33], v[32:33], v[52:53]
	v_fma_f64 v[44:45], v[192:193], s[42:43], v[42:43]
	v_add_f64_e32 v[10:11], v[34:35], v[10:11]
	v_fma_f64 v[34:35], v[192:193], s[26:27], v[42:43]
	v_mul_f64_e32 v[42:43], s[12:13], v[241:242]
	s_delay_alu instid0(VALU_DEP_4) | instskip(SKIP_1) | instid1(VALU_DEP_4)
	v_add_f64_e32 v[32:33], v[44:45], v[32:33]
	v_mul_f64_e32 v[44:45], s[20:21], v[235:236]
	v_add_f64_e32 v[8:9], v[34:35], v[8:9]
	s_delay_alu instid0(VALU_DEP_2) | instskip(SKIP_2) | instid1(VALU_DEP_3)
	v_fma_f64 v[46:47], v[214:215], s[12:13], v[44:45]
	v_fma_f64 v[34:35], v[214:215], s[12:13], -v[44:45]
	v_mul_f64_e32 v[44:45], s[22:23], v[239:240]
	v_add_f64_e32 v[30:31], v[46:47], v[30:31]
	v_mul_f64_e32 v[46:47], s[12:13], v[218:219]
	s_delay_alu instid0(VALU_DEP_4) | instskip(NEXT) | instid1(VALU_DEP_2)
	v_add_f64_e32 v[10:11], v[34:35], v[10:11]
	v_fma_f64 v[48:49], v[204:205], s[28:29], v[46:47]
	v_fma_f64 v[34:35], v[204:205], s[20:21], v[46:47]
	v_mul_f64_e32 v[46:47], s[14:15], v[237:238]
	s_delay_alu instid0(VALU_DEP_3) | instskip(SKIP_1) | instid1(VALU_DEP_4)
	v_add_f64_e32 v[32:33], v[48:49], v[32:33]
	v_mul_f64_e32 v[48:49], s[40:41], v[233:234]
	v_add_f64_e32 v[8:9], v[34:35], v[8:9]
	s_delay_alu instid0(VALU_DEP_2) | instskip(SKIP_2) | instid1(VALU_DEP_3)
	v_fma_f64 v[50:51], v[220:221], s[0:1], v[48:49]
	v_fma_f64 v[34:35], v[220:221], s[0:1], -v[48:49]
	v_mul_f64_e32 v[48:49], s[40:41], v[235:236]
	v_add_f64_e32 v[30:31], v[50:51], v[30:31]
	v_mul_f64_e32 v[50:51], s[0:1], v[222:223]
	s_delay_alu instid0(VALU_DEP_4) | instskip(NEXT) | instid1(VALU_DEP_2)
	v_add_f64_e32 v[10:11], v[34:35], v[10:11]
	v_fma_f64 v[52:53], v[212:213], s[10:11], v[50:51]
	v_fma_f64 v[34:35], v[212:213], s[40:41], v[50:51]
	v_mul_f64_e32 v[50:51], s[0:1], v[218:219]
	s_delay_alu instid0(VALU_DEP_3) | instskip(SKIP_1) | instid1(VALU_DEP_4)
	;; [unrolled: 15-line block ×3, first 2 shown]
	v_add_f64_e32 v[10:11], v[36:37], v[34:35]
	v_fma_f64 v[34:35], v[194:195], s[12:13], v[40:41]
	v_add_f64_e32 v[32:33], v[56:57], v[32:33]
	v_mul_f64_e32 v[56:57], s[18:19], v[226:227]
	ds_store_b128 v12, v[14:17] offset:32
	ds_store_b128 v12, v[22:25] offset:48
	;; [unrolled: 1-line block ×3, first 2 shown]
	v_add_f64_e32 v[6:7], v[34:35], v[6:7]
	v_fma_f64 v[34:35], v[184:185], s[20:21], v[42:43]
	s_delay_alu instid0(VALU_DEP_1) | instskip(SKIP_1) | instid1(VALU_DEP_1)
	v_add_f64_e32 v[4:5], v[34:35], v[4:5]
	v_fma_f64 v[34:35], v[206:207], s[14:15], v[44:45]
	v_add_f64_e32 v[6:7], v[34:35], v[6:7]
	v_fma_f64 v[34:35], v[192:193], s[38:39], v[46:47]
	s_delay_alu instid0(VALU_DEP_1) | instskip(SKIP_1) | instid1(VALU_DEP_1)
	v_add_f64_e32 v[4:5], v[34:35], v[4:5]
	v_fma_f64 v[34:35], v[214:215], s[0:1], v[48:49]
	;; [unrolled: 5-line block ×4, first 2 shown]
	v_add_f64_e32 v[34:35], v[34:35], v[6:7]
	v_mul_f64_e32 v[6:7], s[8:9], v[231:232]
	s_delay_alu instid0(VALU_DEP_1) | instskip(SKIP_1) | instid1(VALU_DEP_2)
	v_fma_f64 v[36:37], v[224:225], s[36:37], v[6:7]
	v_fma_f64 v[6:7], v[224:225], s[18:19], v[6:7]
	v_add_f64_e32 v[36:37], v[36:37], v[4:5]
	v_fma_f64 v[4:5], v[194:195], s[12:13], -v[40:41]
	v_mul_f64_e32 v[40:41], s[24:25], v[241:242]
	s_delay_alu instid0(VALU_DEP_2) | instskip(SKIP_1) | instid1(VALU_DEP_3)
	v_add_f64_e32 v[2:3], v[4:5], v[2:3]
	v_fma_f64 v[4:5], v[184:185], s[28:29], v[42:43]
	v_fma_f64 v[42:43], v[184:185], s[42:43], v[40:41]
	s_delay_alu instid0(VALU_DEP_2) | instskip(SKIP_2) | instid1(VALU_DEP_4)
	v_add_f64_e32 v[0:1], v[4:5], v[0:1]
	v_fma_f64 v[4:5], v[206:207], s[14:15], -v[44:45]
	v_mul_f64_e32 v[44:45], s[16:17], v[239:240]
	v_add_f64_e32 v[42:43], v[42:43], v[251:252]
	s_delay_alu instid0(VALU_DEP_3) | instskip(SKIP_1) | instid1(VALU_DEP_4)
	v_add_f64_e32 v[2:3], v[4:5], v[2:3]
	v_fma_f64 v[4:5], v[192:193], s[22:23], v[46:47]
	v_fma_f64 v[46:47], v[206:207], s[2:3], v[44:45]
	s_delay_alu instid0(VALU_DEP_2) | instskip(SKIP_1) | instid1(VALU_DEP_1)
	v_add_f64_e32 v[0:1], v[4:5], v[0:1]
	v_fma_f64 v[4:5], v[214:215], s[0:1], -v[48:49]
	v_add_f64_e32 v[2:3], v[4:5], v[2:3]
	v_fma_f64 v[4:5], v[204:205], s[40:41], v[50:51]
	s_delay_alu instid0(VALU_DEP_1) | instskip(SKIP_1) | instid1(VALU_DEP_1)
	v_add_f64_e32 v[0:1], v[4:5], v[0:1]
	v_fma_f64 v[4:5], v[220:221], s[24:25], -v[52:53]
	v_add_f64_e32 v[2:3], v[4:5], v[2:3]
	v_fma_f64 v[4:5], v[212:213], s[26:27], v[54:55]
	s_delay_alu instid0(VALU_DEP_1) | instskip(SKIP_1) | instid1(VALU_DEP_1)
	v_add_f64_e32 v[4:5], v[4:5], v[0:1]
	v_fma_f64 v[0:1], v[229:230], s[8:9], -v[56:57]
	v_add_f64_e32 v[0:1], v[0:1], v[2:3]
	s_delay_alu instid0(VALU_DEP_3) | instskip(SKIP_1) | instid1(VALU_DEP_1)
	v_add_f64_e32 v[2:3], v[6:7], v[4:5]
	v_mul_f64_e32 v[4:5], s[26:27], v[247:248]
	v_fma_f64 v[6:7], v[194:195], s[24:25], v[4:5]
	v_fma_f64 v[4:5], v[194:195], s[24:25], -v[4:5]
	s_delay_alu instid0(VALU_DEP_2) | instskip(NEXT) | instid1(VALU_DEP_2)
	v_add_f64_e32 v[6:7], v[6:7], v[253:254]
	v_add_f64_e32 v[4:5], v[4:5], v[245:246]
	s_delay_alu instid0(VALU_DEP_2) | instskip(SKIP_1) | instid1(VALU_DEP_1)
	v_add_f64_e32 v[6:7], v[46:47], v[6:7]
	v_mul_f64_e32 v[46:47], s[2:3], v[237:238]
	v_fma_f64 v[48:49], v[192:193], s[30:31], v[46:47]
	s_delay_alu instid0(VALU_DEP_1) | instskip(SKIP_1) | instid1(VALU_DEP_1)
	v_add_f64_e32 v[42:43], v[48:49], v[42:43]
	v_mul_f64_e32 v[48:49], s[38:39], v[235:236]
	v_fma_f64 v[50:51], v[214:215], s[14:15], v[48:49]
	s_delay_alu instid0(VALU_DEP_1) | instskip(SKIP_1) | instid1(VALU_DEP_1)
	;; [unrolled: 4-line block ×6, first 2 shown]
	v_add_f64_e32 v[231:232], v[218:219], v[6:7]
	v_fma_f64 v[6:7], v[224:225], s[20:21], v[58:59]
	v_add_f64_e32 v[233:234], v[6:7], v[42:43]
	v_fma_f64 v[6:7], v[184:185], s[26:27], v[40:41]
	v_fma_f64 v[40:41], v[206:207], s[2:3], -v[44:45]
	v_fma_f64 v[42:43], v[224:225], s[28:29], v[58:59]
	s_delay_alu instid0(VALU_DEP_3) | instskip(NEXT) | instid1(VALU_DEP_3)
	v_add_f64_e32 v[6:7], v[6:7], v[243:244]
	v_add_f64_e32 v[4:5], v[40:41], v[4:5]
	v_fma_f64 v[40:41], v[192:193], s[16:17], v[46:47]
	s_delay_alu instid0(VALU_DEP_1) | instskip(SKIP_1) | instid1(VALU_DEP_1)
	v_add_f64_e32 v[6:7], v[40:41], v[6:7]
	v_fma_f64 v[40:41], v[214:215], s[14:15], -v[48:49]
	v_add_f64_e32 v[4:5], v[40:41], v[4:5]
	v_fma_f64 v[40:41], v[204:205], s[38:39], v[50:51]
	s_delay_alu instid0(VALU_DEP_1) | instskip(SKIP_1) | instid1(VALU_DEP_1)
	v_add_f64_e32 v[6:7], v[40:41], v[6:7]
	v_fma_f64 v[40:41], v[220:221], s[8:9], -v[52:53]
	v_add_f64_e32 v[4:5], v[40:41], v[4:5]
	v_fma_f64 v[40:41], v[212:213], s[18:19], v[54:55]
	s_delay_alu instid0(VALU_DEP_1) | instskip(SKIP_1) | instid1(VALU_DEP_2)
	v_add_f64_e32 v[6:7], v[40:41], v[6:7]
	v_fma_f64 v[40:41], v[229:230], s[12:13], -v[56:57]
	v_add_f64_e32 v[237:238], v[42:43], v[6:7]
	s_delay_alu instid0(VALU_DEP_2) | instskip(SKIP_4) | instid1(VALU_DEP_4)
	v_add_f64_e32 v[235:236], v[40:41], v[4:5]
	v_fma_f64 v[4:5], v[194:195], s[14:15], -v[190:191]
	v_fma_f64 v[6:7], v[184:185], s[22:23], v[196:197]
	v_fma_f64 v[40:41], v[206:207], s[12:13], -v[198:199]
	v_fma_f64 v[42:43], v[192:193], s[20:21], v[200:201]
	v_add_f64_e32 v[4:5], v[4:5], v[186:187]
	s_delay_alu instid0(VALU_DEP_4) | instskip(NEXT) | instid1(VALU_DEP_2)
	v_add_f64_e32 v[6:7], v[6:7], v[188:189]
	v_add_f64_e32 v[4:5], v[40:41], v[4:5]
	s_delay_alu instid0(VALU_DEP_2) | instskip(SKIP_2) | instid1(VALU_DEP_2)
	v_add_f64_e32 v[6:7], v[42:43], v[6:7]
	v_fma_f64 v[40:41], v[214:215], s[8:9], -v[202:203]
	v_fma_f64 v[42:43], v[204:205], s[18:19], v[208:209]
	v_add_f64_e32 v[4:5], v[40:41], v[4:5]
	s_delay_alu instid0(VALU_DEP_2) | instskip(SKIP_2) | instid1(VALU_DEP_2)
	v_add_f64_e32 v[6:7], v[42:43], v[6:7]
	v_fma_f64 v[40:41], v[220:221], s[2:3], -v[210:211]
	v_fma_f64 v[42:43], v[212:213], s[16:17], v[216:217]
	v_add_f64_e32 v[4:5], v[40:41], v[4:5]
	s_delay_alu instid0(VALU_DEP_2) | instskip(SKIP_1) | instid1(VALU_DEP_2)
	v_add_f64_e32 v[6:7], v[42:43], v[6:7]
	v_fma_f64 v[40:41], v[229:230], s[0:1], -v[249:250]
	v_add_f64_e32 v[186:187], v[38:39], v[6:7]
	s_delay_alu instid0(VALU_DEP_2)
	v_add_f64_e32 v[184:185], v[40:41], v[4:5]
	v_add_nc_u32_e32 v4, 0xd0, v13
	ds_store_b128 v12, v[34:37] offset:80
	ds_store_b128 v12, v[231:234] offset:96
	;; [unrolled: 1-line block ×4, first 2 shown]
	ds_store_b128 v12, v[180:183]
	ds_store_b128 v12, v[0:3] offset:128
	ds_store_b128 v12, v[8:11] offset:144
	;; [unrolled: 1-line block ×5, first 2 shown]
	s_and_saveexec_b32 s33, vcc_lo
	s_cbranch_execz .LBB0_13
; %bb.12:
	s_clause 0x1
	scratch_load_b128 v[15:18], off, off offset:4 th:TH_LOAD_LU
	scratch_load_b128 v[9:12], off, off offset:20 th:TH_LOAD_LU
	v_add_f64_e64 v[37:38], v[84:85], -v[88:89]
	v_add_f64_e32 v[41:42], v[84:85], v[88:89]
	v_add_f64_e64 v[45:46], v[76:77], -v[80:81]
	v_add_f64_e32 v[47:48], v[78:79], v[82:83]
	v_add_f64_e32 v[49:50], v[76:77], v[80:81]
	;; [unrolled: 1-line block ×3, first 2 shown]
	v_add_f64_e64 v[43:44], v[86:87], -v[90:91]
	v_add_f64_e64 v[178:179], v[128:129], -v[124:125]
	v_add_f64_e32 v[176:177], v[130:131], v[126:127]
	s_wait_loadcnt 0x1
	v_add_f64_e32 v[0:1], v[174:175], v[17:18]
	v_add_f64_e32 v[2:3], v[172:173], v[15:16]
	;; [unrolled: 1-line block ×3, first 2 shown]
	v_add_f64_e64 v[17:18], v[17:18], -v[62:63]
	s_wait_loadcnt 0x0
	s_delay_alu instid0(VALU_DEP_4) | instskip(NEXT) | instid1(VALU_DEP_4)
	v_add_f64_e32 v[0:1], v[0:1], v[11:12]
	v_add_f64_e32 v[2:3], v[2:3], v[9:10]
	s_delay_alu instid0(VALU_DEP_3)
	v_mul_f64_e32 v[53:54], s[16:17], v[17:18]
	v_mul_f64_e32 v[55:56], s[18:19], v[17:18]
	;; [unrolled: 1-line block ×3, first 2 shown]
	v_add_f64_e32 v[0:1], v[0:1], v[78:79]
	v_add_f64_e32 v[2:3], v[2:3], v[76:77]
	v_add_f64_e64 v[76:77], v[78:79], -v[82:83]
	v_add_f64_e64 v[78:79], v[9:10], -v[72:73]
	s_delay_alu instid0(VALU_DEP_4) | instskip(NEXT) | instid1(VALU_DEP_4)
	v_add_f64_e32 v[0:1], v[0:1], v[86:87]
	v_add_f64_e32 v[2:3], v[2:3], v[84:85]
	v_add_f64_e64 v[84:85], v[11:12], -v[74:75]
	s_delay_alu instid0(VALU_DEP_3) | instskip(NEXT) | instid1(VALU_DEP_3)
	v_add_f64_e32 v[0:1], v[0:1], v[118:119]
	v_add_f64_e32 v[2:3], v[2:3], v[116:117]
	s_delay_alu instid0(VALU_DEP_2) | instskip(NEXT) | instid1(VALU_DEP_2)
	v_add_f64_e32 v[0:1], v[0:1], v[130:131]
	v_add_f64_e32 v[2:3], v[2:3], v[128:129]
	;; [unrolled: 1-line block ×3, first 2 shown]
	v_add_f64_e64 v[130:131], v[130:131], -v[126:127]
	s_delay_alu instid0(VALU_DEP_4) | instskip(NEXT) | instid1(VALU_DEP_4)
	v_add_f64_e32 v[5:6], v[0:1], v[126:127]
	v_add_f64_e32 v[7:8], v[2:3], v[124:125]
	v_add_f64_e64 v[0:1], v[116:117], -v[112:113]
	v_add_f64_e32 v[116:117], v[116:117], v[112:113]
	v_add_f64_e32 v[124:125], v[118:119], v[114:115]
	v_add_f64_e64 v[2:3], v[118:119], -v[114:115]
	v_mul_f64_e32 v[186:187], s[28:29], v[130:131]
	v_add_f64_e32 v[5:6], v[5:6], v[114:115]
	v_add_f64_e32 v[7:8], v[7:8], v[112:113]
	s_delay_alu instid0(VALU_DEP_2) | instskip(NEXT) | instid1(VALU_DEP_2)
	v_add_f64_e32 v[5:6], v[5:6], v[90:91]
	v_add_f64_e32 v[7:8], v[7:8], v[88:89]
	s_delay_alu instid0(VALU_DEP_2) | instskip(NEXT) | instid1(VALU_DEP_2)
	v_add_f64_e32 v[5:6], v[5:6], v[82:83]
	v_add_f64_e32 v[7:8], v[7:8], v[80:81]
	;; [unrolled: 1-line block ×4, first 2 shown]
	v_add_f64_e64 v[11:12], v[15:16], -v[60:61]
	v_add_f64_e32 v[15:16], v[15:16], v[60:61]
	v_add_f64_e32 v[5:6], v[5:6], v[74:75]
	;; [unrolled: 1-line block ×3, first 2 shown]
	s_delay_alu instid0(VALU_DEP_4)
	v_mul_f64_e32 v[19:20], s[16:17], v[11:12]
	v_mul_f64_e32 v[21:22], s[18:19], v[11:12]
	;; [unrolled: 1-line block ×4, first 2 shown]
	v_fma_f64 v[72:73], v[15:16], s[2:3], -v[53:54]
	v_fma_f64 v[53:54], v[15:16], s[2:3], v[53:54]
	v_fma_f64 v[74:75], v[15:16], s[8:9], -v[55:56]
	v_fma_f64 v[55:56], v[15:16], s[8:9], v[55:56]
	;; [unrolled: 2-line block ×3, first 2 shown]
	v_add_f64_e32 v[7:8], v[5:6], v[62:63]
	v_add_f64_e32 v[5:6], v[9:10], v[60:61]
	v_mul_f64_e32 v[9:10], s[10:11], v[11:12]
	v_mul_f64_e32 v[11:12], s[42:43], v[11:12]
	v_fma_f64 v[29:30], v[13:14], s[2:3], v[19:20]
	v_fma_f64 v[19:20], v[13:14], s[2:3], -v[19:20]
	v_fma_f64 v[31:32], v[13:14], s[8:9], v[21:22]
	v_fma_f64 v[21:22], v[13:14], s[8:9], -v[21:22]
	;; [unrolled: 2-line block ×4, first 2 shown]
	v_mul_f64_e32 v[59:60], s[22:23], v[17:18]
	v_add_f64_e32 v[72:73], v[172:173], v[72:73]
	v_add_f64_e32 v[53:54], v[172:173], v[53:54]
	;; [unrolled: 1-line block ×6, first 2 shown]
	v_fma_f64 v[27:28], v[13:14], s[0:1], v[9:10]
	v_fma_f64 v[9:10], v[13:14], s[0:1], -v[9:10]
	v_fma_f64 v[51:52], v[13:14], s[24:25], v[11:12]
	v_fma_f64 v[11:12], v[13:14], s[24:25], -v[11:12]
	v_mul_f64_e32 v[13:14], s[10:11], v[17:18]
	v_mul_f64_e32 v[17:18], s[42:43], v[17:18]
	v_add_f64_e32 v[112:113], v[174:175], v[19:20]
	v_mul_f64_e32 v[19:20], s[16:17], v[45:46]
	v_add_f64_e32 v[114:115], v[174:175], v[21:22]
	v_add_f64_e32 v[29:30], v[174:175], v[29:30]
	v_fma_f64 v[88:89], v[15:16], s[14:15], -v[59:60]
	v_fma_f64 v[59:60], v[15:16], s[14:15], v[59:60]
	v_add_f64_e32 v[31:32], v[174:175], v[31:32]
	v_add_f64_e32 v[33:34], v[174:175], v[33:34]
	;; [unrolled: 1-line block ×6, first 2 shown]
	v_fma_f64 v[61:62], v[15:16], s[0:1], -v[13:14]
	v_fma_f64 v[13:14], v[15:16], s[0:1], v[13:14]
	v_fma_f64 v[90:91], v[15:16], s[24:25], -v[17:18]
	v_fma_f64 v[15:16], v[15:16], s[24:25], v[17:18]
	v_add_f64_e32 v[17:18], v[174:175], v[27:28]
	v_fma_f64 v[21:22], v[47:48], s[2:3], v[19:20]
	v_add_f64_e32 v[88:89], v[172:173], v[88:89]
	v_add_f64_e32 v[182:183], v[172:173], v[59:60]
	v_mul_f64_e32 v[59:60], s[28:29], v[178:179]
	v_add_f64_e32 v[27:28], v[172:173], v[61:62]
	v_add_f64_e32 v[13:14], v[172:173], v[13:14]
	;; [unrolled: 1-line block ×4, first 2 shown]
	v_mul_f64_e32 v[15:16], s[26:27], v[78:79]
	v_add_f64_e32 v[61:62], v[174:175], v[9:10]
	v_add_f64_e32 v[174:175], v[174:175], v[11:12]
	s_delay_alu instid0(VALU_DEP_3) | instskip(SKIP_1) | instid1(VALU_DEP_2)
	v_fma_f64 v[9:10], v[80:81], s[24:25], v[15:16]
	v_fma_f64 v[15:16], v[80:81], s[24:25], -v[15:16]
	v_add_f64_e32 v[9:10], v[9:10], v[17:18]
	v_mul_f64_e32 v[17:18], s[26:27], v[84:85]
	s_delay_alu instid0(VALU_DEP_3) | instskip(NEXT) | instid1(VALU_DEP_3)
	v_add_f64_e32 v[15:16], v[15:16], v[61:62]
	v_add_f64_e32 v[9:10], v[21:22], v[9:10]
	s_delay_alu instid0(VALU_DEP_3) | instskip(SKIP_2) | instid1(VALU_DEP_3)
	v_fma_f64 v[11:12], v[82:83], s[24:25], -v[17:18]
	v_mul_f64_e32 v[21:22], s[16:17], v[76:77]
	v_fma_f64 v[17:18], v[82:83], s[24:25], v[17:18]
	v_add_f64_e32 v[11:12], v[11:12], v[27:28]
	s_delay_alu instid0(VALU_DEP_3) | instskip(NEXT) | instid1(VALU_DEP_3)
	v_fma_f64 v[23:24], v[49:50], s[2:3], -v[21:22]
	v_add_f64_e32 v[13:14], v[17:18], v[13:14]
	v_fma_f64 v[17:18], v[47:48], s[2:3], -v[19:20]
	v_fma_f64 v[19:20], v[128:129], s[12:13], v[186:187]
	s_delay_alu instid0(VALU_DEP_4) | instskip(SKIP_1) | instid1(VALU_DEP_4)
	v_add_f64_e32 v[11:12], v[23:24], v[11:12]
	v_mul_f64_e32 v[23:24], s[38:39], v[37:38]
	v_add_f64_e32 v[15:16], v[17:18], v[15:16]
	v_fma_f64 v[17:18], v[49:50], s[2:3], v[21:22]
	v_mul_f64_e32 v[21:22], s[28:29], v[78:79]
	s_delay_alu instid0(VALU_DEP_4) | instskip(NEXT) | instid1(VALU_DEP_3)
	v_fma_f64 v[25:26], v[39:40], s[14:15], v[23:24]
	v_add_f64_e32 v[13:14], v[17:18], v[13:14]
	v_fma_f64 v[17:18], v[39:40], s[14:15], -v[23:24]
	v_mul_f64_e32 v[23:24], s[28:29], v[84:85]
	s_delay_alu instid0(VALU_DEP_4) | instskip(SKIP_1) | instid1(VALU_DEP_4)
	v_add_f64_e32 v[9:10], v[25:26], v[9:10]
	v_mul_f64_e32 v[25:26], s[38:39], v[43:44]
	v_add_f64_e32 v[15:16], v[17:18], v[15:16]
	s_delay_alu instid0(VALU_DEP_2) | instskip(SKIP_2) | instid1(VALU_DEP_3)
	v_fma_f64 v[27:28], v[41:42], s[14:15], -v[25:26]
	v_fma_f64 v[17:18], v[41:42], s[14:15], v[25:26]
	v_mul_f64_e32 v[25:26], s[22:23], v[45:46]
	v_add_f64_e32 v[11:12], v[27:28], v[11:12]
	v_mul_f64_e32 v[27:28], s[18:19], v[0:1]
	s_delay_alu instid0(VALU_DEP_4) | instskip(NEXT) | instid1(VALU_DEP_2)
	v_add_f64_e32 v[13:14], v[17:18], v[13:14]
	v_fma_f64 v[35:36], v[124:125], s[8:9], v[27:28]
	v_fma_f64 v[17:18], v[124:125], s[8:9], -v[27:28]
	v_fma_f64 v[27:28], v[47:48], s[14:15], v[25:26]
	v_fma_f64 v[25:26], v[47:48], s[14:15], -v[25:26]
	s_delay_alu instid0(VALU_DEP_4) | instskip(SKIP_2) | instid1(VALU_DEP_2)
	v_add_f64_e32 v[9:10], v[35:36], v[9:10]
	v_mul_f64_e32 v[35:36], s[18:19], v[2:3]
	v_add_f64_e32 v[15:16], v[17:18], v[15:16]
	v_fma_f64 v[17:18], v[116:117], s[8:9], v[35:36]
	v_fma_f64 v[51:52], v[116:117], s[8:9], -v[35:36]
	s_delay_alu instid0(VALU_DEP_2) | instskip(SKIP_1) | instid1(VALU_DEP_3)
	v_add_f64_e32 v[13:14], v[17:18], v[13:14]
	v_fma_f64 v[17:18], v[176:177], s[12:13], -v[59:60]
	v_add_f64_e32 v[51:52], v[51:52], v[11:12]
	v_fma_f64 v[11:12], v[176:177], s[12:13], v[59:60]
	s_delay_alu instid0(VALU_DEP_4) | instskip(NEXT) | instid1(VALU_DEP_4)
	v_add_f64_e32 v[13:14], v[19:20], v[13:14]
	v_add_f64_e32 v[15:16], v[17:18], v[15:16]
	v_fma_f64 v[17:18], v[80:81], s[12:13], v[21:22]
	v_fma_f64 v[19:20], v[82:83], s[12:13], -v[23:24]
	v_fma_f64 v[21:22], v[80:81], s[12:13], -v[21:22]
	v_add_f64_e32 v[11:12], v[11:12], v[9:10]
	v_fma_f64 v[9:10], v[128:129], s[12:13], -v[186:187]
	v_fma_f64 v[23:24], v[82:83], s[12:13], v[23:24]
	v_mul_f64_e32 v[186:187], s[18:19], v[130:131]
	v_add_f64_e32 v[17:18], v[17:18], v[29:30]
	v_add_f64_e32 v[19:20], v[19:20], v[72:73]
	v_add_f64_e32 v[21:22], v[21:22], v[112:113]
	v_mul_f64_e32 v[72:73], s[18:19], v[178:179]
	v_add_f64_e32 v[9:10], v[9:10], v[51:52]
	v_add_f64_e32 v[23:24], v[23:24], v[53:54]
	v_mul_f64_e32 v[112:113], s[38:39], v[178:179]
	v_add_f64_e32 v[17:18], v[27:28], v[17:18]
	v_mul_f64_e32 v[27:28], s[22:23], v[76:77]
	v_add_f64_e32 v[21:22], v[25:26], v[21:22]
	s_delay_alu instid0(VALU_DEP_2) | instskip(SKIP_2) | instid1(VALU_DEP_3)
	v_fma_f64 v[29:30], v[49:50], s[14:15], -v[27:28]
	v_fma_f64 v[25:26], v[49:50], s[14:15], v[27:28]
	v_fma_f64 v[27:28], v[128:129], s[8:9], v[186:187]
	v_add_f64_e32 v[19:20], v[29:30], v[19:20]
	v_mul_f64_e32 v[29:30], s[40:41], v[37:38]
	s_delay_alu instid0(VALU_DEP_4) | instskip(NEXT) | instid1(VALU_DEP_2)
	v_add_f64_e32 v[23:24], v[25:26], v[23:24]
	v_fma_f64 v[35:36], v[39:40], s[0:1], v[29:30]
	v_fma_f64 v[25:26], v[39:40], s[0:1], -v[29:30]
	v_mul_f64_e32 v[29:30], s[30:31], v[78:79]
	s_delay_alu instid0(VALU_DEP_3) | instskip(SKIP_1) | instid1(VALU_DEP_4)
	v_add_f64_e32 v[17:18], v[35:36], v[17:18]
	v_mul_f64_e32 v[35:36], s[40:41], v[43:44]
	v_add_f64_e32 v[21:22], v[25:26], v[21:22]
	s_delay_alu instid0(VALU_DEP_2) | instskip(SKIP_2) | instid1(VALU_DEP_3)
	v_fma_f64 v[51:52], v[41:42], s[0:1], -v[35:36]
	v_fma_f64 v[25:26], v[41:42], s[0:1], v[35:36]
	v_mul_f64_e32 v[35:36], s[26:27], v[45:46]
	v_add_f64_e32 v[19:20], v[51:52], v[19:20]
	v_mul_f64_e32 v[51:52], s[26:27], v[0:1]
	s_delay_alu instid0(VALU_DEP_4) | instskip(NEXT) | instid1(VALU_DEP_2)
	v_add_f64_e32 v[23:24], v[25:26], v[23:24]
	v_fma_f64 v[59:60], v[124:125], s[24:25], v[51:52]
	v_fma_f64 v[25:26], v[124:125], s[24:25], -v[51:52]
	v_fma_f64 v[51:52], v[47:48], s[24:25], v[35:36]
	v_fma_f64 v[35:36], v[47:48], s[24:25], -v[35:36]
	s_delay_alu instid0(VALU_DEP_4) | instskip(SKIP_2) | instid1(VALU_DEP_2)
	v_add_f64_e32 v[17:18], v[59:60], v[17:18]
	v_mul_f64_e32 v[59:60], s[26:27], v[2:3]
	v_add_f64_e32 v[21:22], v[25:26], v[21:22]
	v_fma_f64 v[25:26], v[116:117], s[24:25], v[59:60]
	v_fma_f64 v[61:62], v[116:117], s[24:25], -v[59:60]
	s_delay_alu instid0(VALU_DEP_2) | instskip(SKIP_1) | instid1(VALU_DEP_3)
	v_add_f64_e32 v[25:26], v[25:26], v[23:24]
	v_fma_f64 v[23:24], v[176:177], s[8:9], -v[72:73]
	v_add_f64_e32 v[61:62], v[61:62], v[19:20]
	v_fma_f64 v[19:20], v[176:177], s[8:9], v[72:73]
	s_delay_alu instid0(VALU_DEP_3)
	v_add_f64_e32 v[23:24], v[23:24], v[21:22]
	v_add_f64_e32 v[21:22], v[27:28], v[25:26]
	v_fma_f64 v[25:26], v[80:81], s[2:3], v[29:30]
	v_fma_f64 v[29:30], v[80:81], s[2:3], -v[29:30]
	v_add_f64_e32 v[19:20], v[19:20], v[17:18]
	v_fma_f64 v[17:18], v[128:129], s[8:9], -v[186:187]
	v_mul_f64_e32 v[186:187], s[38:39], v[130:131]
	v_add_f64_e32 v[25:26], v[25:26], v[31:32]
	v_mul_f64_e32 v[31:32], s[30:31], v[84:85]
	v_add_f64_e32 v[29:30], v[29:30], v[114:115]
	v_add_f64_e32 v[17:18], v[17:18], v[61:62]
	v_mul_f64_e32 v[114:115], s[16:17], v[178:179]
	v_add_f64_e32 v[25:26], v[51:52], v[25:26]
	v_fma_f64 v[27:28], v[82:83], s[2:3], -v[31:32]
	v_mul_f64_e32 v[51:52], s[26:27], v[76:77]
	v_fma_f64 v[31:32], v[82:83], s[2:3], v[31:32]
	v_add_f64_e32 v[29:30], v[35:36], v[29:30]
	s_delay_alu instid0(VALU_DEP_4) | instskip(NEXT) | instid1(VALU_DEP_4)
	v_add_f64_e32 v[27:28], v[27:28], v[74:75]
	v_fma_f64 v[53:54], v[49:50], s[24:25], -v[51:52]
	s_delay_alu instid0(VALU_DEP_4)
	v_add_f64_e32 v[31:32], v[31:32], v[55:56]
	v_fma_f64 v[35:36], v[49:50], s[24:25], v[51:52]
	v_fma_f64 v[51:52], v[128:129], s[14:15], v[186:187]
	v_mul_f64_e32 v[55:56], s[36:37], v[45:46]
	v_add_f64_e32 v[27:28], v[53:54], v[27:28]
	v_mul_f64_e32 v[53:54], s[20:21], v[37:38]
	v_add_f64_e32 v[31:32], v[35:36], v[31:32]
	s_delay_alu instid0(VALU_DEP_2) | instskip(SKIP_2) | instid1(VALU_DEP_3)
	v_fma_f64 v[59:60], v[39:40], s[12:13], v[53:54]
	v_fma_f64 v[35:36], v[39:40], s[12:13], -v[53:54]
	v_mul_f64_e32 v[53:54], s[10:11], v[84:85]
	v_add_f64_e32 v[25:26], v[59:60], v[25:26]
	v_mul_f64_e32 v[59:60], s[20:21], v[43:44]
	s_delay_alu instid0(VALU_DEP_4) | instskip(NEXT) | instid1(VALU_DEP_2)
	v_add_f64_e32 v[29:30], v[35:36], v[29:30]
	v_fma_f64 v[61:62], v[41:42], s[12:13], -v[59:60]
	v_fma_f64 v[35:36], v[41:42], s[12:13], v[59:60]
	v_fma_f64 v[59:60], v[47:48], s[8:9], v[55:56]
	v_fma_f64 v[55:56], v[47:48], s[8:9], -v[55:56]
	s_delay_alu instid0(VALU_DEP_4) | instskip(SKIP_2) | instid1(VALU_DEP_2)
	v_add_f64_e32 v[27:28], v[61:62], v[27:28]
	v_mul_f64_e32 v[61:62], s[40:41], v[0:1]
	v_add_f64_e32 v[31:32], v[35:36], v[31:32]
	v_fma_f64 v[72:73], v[124:125], s[0:1], v[61:62]
	v_fma_f64 v[35:36], v[124:125], s[0:1], -v[61:62]
	s_delay_alu instid0(VALU_DEP_2) | instskip(SKIP_1) | instid1(VALU_DEP_3)
	v_add_f64_e32 v[25:26], v[72:73], v[25:26]
	v_mul_f64_e32 v[72:73], s[40:41], v[2:3]
	v_add_f64_e32 v[29:30], v[35:36], v[29:30]
	s_delay_alu instid0(VALU_DEP_2) | instskip(SKIP_1) | instid1(VALU_DEP_2)
	v_fma_f64 v[35:36], v[116:117], s[0:1], v[72:73]
	v_fma_f64 v[74:75], v[116:117], s[0:1], -v[72:73]
	v_add_f64_e32 v[35:36], v[35:36], v[31:32]
	v_fma_f64 v[31:32], v[176:177], s[14:15], -v[112:113]
	s_delay_alu instid0(VALU_DEP_3) | instskip(SKIP_1) | instid1(VALU_DEP_3)
	v_add_f64_e32 v[74:75], v[74:75], v[27:28]
	v_fma_f64 v[27:28], v[176:177], s[14:15], v[112:113]
	v_add_f64_e32 v[31:32], v[31:32], v[29:30]
	v_add_f64_e32 v[29:30], v[51:52], v[35:36]
	v_mul_f64_e32 v[51:52], s[10:11], v[78:79]
	s_delay_alu instid0(VALU_DEP_4) | instskip(SKIP_2) | instid1(VALU_DEP_4)
	v_add_f64_e32 v[27:28], v[27:28], v[25:26]
	v_fma_f64 v[25:26], v[128:129], s[14:15], -v[186:187]
	v_mul_f64_e32 v[186:187], s[16:17], v[130:131]
	v_fma_f64 v[35:36], v[80:81], s[0:1], v[51:52]
	v_fma_f64 v[51:52], v[80:81], s[0:1], -v[51:52]
	s_delay_alu instid0(VALU_DEP_4) | instskip(NEXT) | instid1(VALU_DEP_3)
	v_add_f64_e32 v[25:26], v[25:26], v[74:75]
	v_add_f64_e32 v[33:34], v[35:36], v[33:34]
	v_fma_f64 v[35:36], v[82:83], s[0:1], -v[53:54]
	s_delay_alu instid0(VALU_DEP_4) | instskip(SKIP_1) | instid1(VALU_DEP_4)
	v_add_f64_e32 v[51:52], v[51:52], v[118:119]
	v_fma_f64 v[53:54], v[82:83], s[0:1], v[53:54]
	v_add_f64_e32 v[33:34], v[59:60], v[33:34]
	v_mul_f64_e32 v[59:60], s[36:37], v[76:77]
	v_add_f64_e32 v[35:36], v[35:36], v[86:87]
	s_delay_alu instid0(VALU_DEP_4) | instskip(SKIP_1) | instid1(VALU_DEP_4)
	v_add_f64_e32 v[53:54], v[53:54], v[57:58]
	v_add_f64_e32 v[51:52], v[55:56], v[51:52]
	v_fma_f64 v[61:62], v[49:50], s[8:9], -v[59:60]
	v_fma_f64 v[55:56], v[49:50], s[8:9], v[59:60]
	v_fma_f64 v[58:59], v[128:129], s[2:3], v[186:187]
	s_delay_alu instid0(VALU_DEP_3) | instskip(SKIP_1) | instid1(VALU_DEP_4)
	v_add_f64_e32 v[35:36], v[61:62], v[35:36]
	v_mul_f64_e32 v[61:62], s[26:27], v[37:38]
	v_add_f64_e32 v[53:54], v[55:56], v[53:54]
	s_delay_alu instid0(VALU_DEP_2) | instskip(SKIP_3) | instid1(VALU_DEP_4)
	v_fma_f64 v[72:73], v[39:40], s[24:25], v[61:62]
	v_fma_f64 v[55:56], v[39:40], s[24:25], -v[61:62]
	v_mul_f64_e32 v[60:61], s[18:19], v[78:79]
	v_mul_f64_e32 v[62:63], s[18:19], v[84:85]
	v_add_f64_e32 v[33:34], v[72:73], v[33:34]
	v_mul_f64_e32 v[72:73], s[26:27], v[43:44]
	v_add_f64_e32 v[51:52], v[55:56], v[51:52]
	s_delay_alu instid0(VALU_DEP_2) | instskip(SKIP_3) | instid1(VALU_DEP_4)
	v_fma_f64 v[74:75], v[41:42], s[24:25], -v[72:73]
	v_fma_f64 v[55:56], v[41:42], s[24:25], v[72:73]
	v_mul_f64_e32 v[72:73], s[10:11], v[45:46]
	v_mul_f64_e32 v[45:46], s[20:21], v[45:46]
	v_add_f64_e32 v[35:36], v[74:75], v[35:36]
	v_mul_f64_e32 v[74:75], s[22:23], v[0:1]
	v_add_f64_e32 v[53:54], v[55:56], v[53:54]
	s_delay_alu instid0(VALU_DEP_2) | instskip(SKIP_3) | instid1(VALU_DEP_4)
	v_fma_f64 v[86:87], v[124:125], s[14:15], v[74:75]
	v_fma_f64 v[55:56], v[124:125], s[14:15], -v[74:75]
	v_fma_f64 v[74:75], v[47:48], s[0:1], v[72:73]
	v_fma_f64 v[72:73], v[47:48], s[0:1], -v[72:73]
	v_add_f64_e32 v[33:34], v[86:87], v[33:34]
	v_mul_f64_e32 v[86:87], s[22:23], v[2:3]
	v_add_f64_e32 v[51:52], v[55:56], v[51:52]
	s_delay_alu instid0(VALU_DEP_2) | instskip(SKIP_1) | instid1(VALU_DEP_2)
	v_fma_f64 v[55:56], v[116:117], s[14:15], v[86:87]
	v_fma_f64 v[112:113], v[116:117], s[14:15], -v[86:87]
	v_add_f64_e32 v[56:57], v[55:56], v[53:54]
	v_fma_f64 v[53:54], v[176:177], s[2:3], -v[114:115]
	s_delay_alu instid0(VALU_DEP_3) | instskip(SKIP_1) | instid1(VALU_DEP_3)
	v_add_f64_e32 v[112:113], v[112:113], v[35:36]
	v_fma_f64 v[35:36], v[176:177], s[2:3], v[114:115]
	v_add_f64_e32 v[54:55], v[53:54], v[51:52]
	v_add_f64_e32 v[52:53], v[58:59], v[56:57]
	v_fma_f64 v[56:57], v[80:81], s[8:9], v[60:61]
	v_fma_f64 v[58:59], v[82:83], s[8:9], -v[62:63]
	v_fma_f64 v[60:61], v[80:81], s[8:9], -v[60:61]
	v_add_f64_e32 v[35:36], v[35:36], v[33:34]
	v_fma_f64 v[33:34], v[128:129], s[2:3], -v[186:187]
	v_fma_f64 v[62:63], v[82:83], s[8:9], v[62:63]
	v_mul_f64_e32 v[186:187], s[26:27], v[130:131]
	v_add_f64_e32 v[56:57], v[56:57], v[126:127]
	v_add_f64_e32 v[58:59], v[58:59], v[88:89]
	;; [unrolled: 1-line block ×3, first 2 shown]
	v_mul_f64_e32 v[126:127], s[26:27], v[178:179]
	v_add_f64_e32 v[33:34], v[33:34], v[112:113]
	v_add_f64_e32 v[62:63], v[62:63], v[182:183]
	;; [unrolled: 1-line block ×3, first 2 shown]
	v_mul_f64_e32 v[74:75], s[10:11], v[76:77]
	v_add_f64_e32 v[60:61], v[72:73], v[60:61]
	v_mul_f64_e32 v[76:77], s[20:21], v[76:77]
	s_delay_alu instid0(VALU_DEP_3) | instskip(SKIP_2) | instid1(VALU_DEP_3)
	v_fma_f64 v[86:87], v[49:50], s[0:1], -v[74:75]
	v_fma_f64 v[72:73], v[49:50], s[0:1], v[74:75]
	v_fma_f64 v[74:75], v[128:129], s[24:25], v[186:187]
	v_add_f64_e32 v[58:59], v[86:87], v[58:59]
	v_mul_f64_e32 v[86:87], s[30:31], v[37:38]
	s_delay_alu instid0(VALU_DEP_4) | instskip(SKIP_1) | instid1(VALU_DEP_3)
	v_add_f64_e32 v[62:63], v[72:73], v[62:63]
	v_mul_f64_e32 v[37:38], s[18:19], v[37:38]
	v_fma_f64 v[88:89], v[39:40], s[2:3], v[86:87]
	v_fma_f64 v[72:73], v[39:40], s[2:3], -v[86:87]
	v_fma_f64 v[86:87], v[47:48], s[12:13], -v[45:46]
	v_fma_f64 v[45:46], v[47:48], s[12:13], v[45:46]
	v_fma_f64 v[47:48], v[49:50], s[12:13], -v[76:77]
	v_add_f64_e32 v[56:57], v[88:89], v[56:57]
	v_mul_f64_e32 v[88:89], s[30:31], v[43:44]
	v_add_f64_e32 v[60:61], v[72:73], v[60:61]
	v_mul_f64_e32 v[43:44], s[18:19], v[43:44]
	s_delay_alu instid0(VALU_DEP_3) | instskip(SKIP_2) | instid1(VALU_DEP_3)
	v_fma_f64 v[112:113], v[41:42], s[2:3], -v[88:89]
	v_fma_f64 v[72:73], v[41:42], s[2:3], v[88:89]
	v_mul_f64_e32 v[88:89], s[10:11], v[178:179]
	v_add_f64_e32 v[58:59], v[112:113], v[58:59]
	v_mul_f64_e32 v[112:113], s[28:29], v[0:1]
	s_delay_alu instid0(VALU_DEP_4) | instskip(NEXT) | instid1(VALU_DEP_2)
	v_add_f64_e32 v[62:63], v[72:73], v[62:63]
	v_fma_f64 v[114:115], v[124:125], s[12:13], v[112:113]
	v_fma_f64 v[72:73], v[124:125], s[12:13], -v[112:113]
	v_mul_f64_e32 v[112:113], s[10:11], v[130:131]
	s_delay_alu instid0(VALU_DEP_3) | instskip(SKIP_1) | instid1(VALU_DEP_4)
	v_add_f64_e32 v[56:57], v[114:115], v[56:57]
	v_mul_f64_e32 v[114:115], s[28:29], v[2:3]
	v_add_f64_e32 v[60:61], v[72:73], v[60:61]
	s_delay_alu instid0(VALU_DEP_2) | instskip(SKIP_1) | instid1(VALU_DEP_2)
	v_fma_f64 v[72:73], v[116:117], s[12:13], v[114:115]
	v_fma_f64 v[118:119], v[116:117], s[12:13], -v[114:115]
	v_add_f64_e32 v[72:73], v[72:73], v[62:63]
	v_fma_f64 v[62:63], v[176:177], s[24:25], -v[126:127]
	s_delay_alu instid0(VALU_DEP_3) | instskip(SKIP_1) | instid1(VALU_DEP_3)
	v_add_f64_e32 v[118:119], v[118:119], v[58:59]
	v_fma_f64 v[58:59], v[176:177], s[24:25], v[126:127]
	v_add_f64_e32 v[62:63], v[62:63], v[60:61]
	v_add_f64_e32 v[60:61], v[74:75], v[72:73]
	v_mul_f64_e32 v[72:73], s[22:23], v[78:79]
	v_mul_f64_e32 v[78:79], s[22:23], v[84:85]
	v_add_f64_e32 v[58:59], v[58:59], v[56:57]
	v_fma_f64 v[56:57], v[128:129], s[24:25], -v[186:187]
	s_delay_alu instid0(VALU_DEP_4) | instskip(NEXT) | instid1(VALU_DEP_4)
	v_fma_f64 v[74:75], v[80:81], s[14:15], -v[72:73]
	v_fma_f64 v[84:85], v[82:83], s[14:15], v[78:79]
	v_fma_f64 v[72:73], v[80:81], s[14:15], v[72:73]
	v_fma_f64 v[78:79], v[82:83], s[14:15], -v[78:79]
	v_add_f64_e32 v[56:57], v[56:57], v[118:119]
	v_add_f64_e32 v[74:75], v[74:75], v[174:175]
	;; [unrolled: 1-line block ×3, first 2 shown]
	s_delay_alu instid0(VALU_DEP_2) | instskip(SKIP_3) | instid1(VALU_DEP_3)
	v_add_f64_e32 v[74:75], v[86:87], v[74:75]
	v_fma_f64 v[86:87], v[49:50], s[12:13], v[76:77]
	v_add_f64_e32 v[49:50], v[72:73], v[184:185]
	v_add_f64_e32 v[72:73], v[78:79], v[90:91]
	;; [unrolled: 1-line block ×3, first 2 shown]
	v_fma_f64 v[86:87], v[39:40], s[8:9], -v[37:38]
	v_fma_f64 v[37:38], v[39:40], s[8:9], v[37:38]
	v_fma_f64 v[39:40], v[41:42], s[8:9], -v[43:44]
	s_delay_alu instid0(VALU_DEP_3) | instskip(SKIP_3) | instid1(VALU_DEP_3)
	v_add_f64_e32 v[74:75], v[86:87], v[74:75]
	v_fma_f64 v[86:87], v[41:42], s[8:9], v[43:44]
	v_add_f64_e32 v[41:42], v[45:46], v[49:50]
	v_add_f64_e32 v[43:44], v[47:48], v[72:73]
	v_add_f64_e32 v[84:85], v[86:87], v[84:85]
	v_mul_f64_e32 v[86:87], s[16:17], v[0:1]
	s_delay_alu instid0(VALU_DEP_4) | instskip(NEXT) | instid1(VALU_DEP_4)
	v_add_f64_e32 v[37:38], v[37:38], v[41:42]
	v_add_f64_e32 v[39:40], v[39:40], v[43:44]
	v_fma_f64 v[41:42], v[176:177], s[0:1], v[88:89]
	v_fma_f64 v[43:44], v[128:129], s[0:1], -v[112:113]
	v_fma_f64 v[0:1], v[124:125], s[2:3], -v[86:87]
	v_fma_f64 v[45:46], v[124:125], s[2:3], v[86:87]
	s_delay_alu instid0(VALU_DEP_2) | instskip(SKIP_1) | instid1(VALU_DEP_3)
	v_add_f64_e32 v[0:1], v[0:1], v[74:75]
	v_mul_f64_e32 v[74:75], s[16:17], v[2:3]
	v_add_f64_e32 v[37:38], v[45:46], v[37:38]
	s_delay_alu instid0(VALU_DEP_2) | instskip(SKIP_1) | instid1(VALU_DEP_3)
	v_fma_f64 v[2:3], v[116:117], s[2:3], v[74:75]
	v_fma_f64 v[47:48], v[116:117], s[2:3], -v[74:75]
	v_add_f64_e32 v[74:75], v[41:42], v[37:38]
	s_delay_alu instid0(VALU_DEP_3) | instskip(SKIP_1) | instid1(VALU_DEP_4)
	v_add_f64_e32 v[84:85], v[2:3], v[84:85]
	v_fma_f64 v[2:3], v[176:177], s[0:1], -v[88:89]
	v_add_f64_e32 v[39:40], v[47:48], v[39:40]
	s_delay_alu instid0(VALU_DEP_2) | instskip(SKIP_1) | instid1(VALU_DEP_3)
	v_add_f64_e32 v[2:3], v[2:3], v[0:1]
	v_fma_f64 v[0:1], v[128:129], s[0:1], v[112:113]
	v_add_f64_e32 v[72:73], v[43:44], v[39:40]
	s_delay_alu instid0(VALU_DEP_2)
	v_add_f64_e32 v[0:1], v[0:1], v[84:85]
	ds_store_b128 v255, v[60:63] offset:2736
	ds_store_b128 v255, v[52:55] offset:2752
	;; [unrolled: 1-line block ×13, first 2 shown]
.LBB0_13:
	s_or_b32 exec_lo, exec_lo, s33
	global_wb scope:SCOPE_SE
	s_wait_dscnt 0x0
	s_barrier_signal -1
	s_barrier_wait -1
	global_inv scope:SCOPE_SE
	ds_load_b128 v[0:3], v228 offset:1456
	ds_load_b128 v[5:8], v228 offset:1664
	;; [unrolled: 1-line block ×8, first 2 shown]
	s_mov_b32 s0, 0x37e14327
	s_mov_b32 s2, 0x36b3c0b5
	;; [unrolled: 1-line block ×11, first 2 shown]
	s_wait_alu 0xfffe
	s_mov_b32 s16, s14
	s_wait_dscnt 0x7
	v_mul_f64_e32 v[33:34], v[66:67], v[2:3]
	v_mul_f64_e32 v[35:36], v[66:67], v[0:1]
	s_wait_dscnt 0x6
	v_mul_f64_e32 v[37:38], v[66:67], v[7:8]
	v_mul_f64_e32 v[39:40], v[66:67], v[5:6]
	;; [unrolled: 3-line block ×7, first 2 shown]
	s_mov_b32 s12, 0xaaaaaaaa
	s_mov_b32 s13, 0xbff2aaaa
	v_fma_f64 v[33:34], v[64:65], v[0:1], v[33:34]
	v_fma_f64 v[35:36], v[64:65], v[2:3], -v[35:36]
	v_fma_f64 v[37:38], v[64:65], v[5:6], v[37:38]
	v_fma_f64 v[39:40], v[64:65], v[7:8], -v[39:40]
	;; [unrolled: 2-line block ×6, first 2 shown]
	ds_load_b128 v[0:3], v228
	ds_load_b128 v[5:8], v228 offset:208
	ds_load_b128 v[9:12], v228 offset:416
	;; [unrolled: 1-line block ×5, first 2 shown]
	v_fma_f64 v[68:69], v[104:105], v[25:26], v[57:58]
	v_fma_f64 v[70:71], v[104:105], v[27:28], -v[59:60]
	global_wb scope:SCOPE_SE
	s_wait_dscnt 0x0
	s_barrier_signal -1
	s_barrier_wait -1
	global_inv scope:SCOPE_SE
	v_add_f64_e64 v[25:26], v[0:1], -v[33:34]
	v_add_f64_e64 v[27:28], v[2:3], -v[35:36]
	;; [unrolled: 1-line block ×14, first 2 shown]
	v_fma_f64 v[0:1], v[0:1], 2.0, -v[25:26]
	v_fma_f64 v[2:3], v[2:3], 2.0, -v[27:28]
	;; [unrolled: 1-line block ×12, first 2 shown]
	ds_store_b128 v228, v[0:3]
	ds_store_b128 v228, v[25:28] offset:208
	ds_store_b128 v228, v[5:8] offset:416
	;; [unrolled: 1-line block ×3, first 2 shown]
	scratch_load_b32 v0, off, off offset:268 th:TH_LOAD_LU ; 4-byte Folded Reload
	v_fma_f64 v[29:30], v[29:30], 2.0, -v[68:69]
	v_fma_f64 v[31:32], v[31:32], 2.0, -v[70:71]
	s_wait_loadcnt 0x0
	ds_store_b128 v0, v[9:12] offset:832
	ds_store_b128 v0, v[52:55] offset:1040
	scratch_load_b32 v0, off, off offset:272 th:TH_LOAD_LU ; 4-byte Folded Reload
	s_wait_loadcnt 0x0
	ds_store_b128 v0, v[13:16] offset:1248
	ds_store_b128 v0, v[56:59] offset:1456
	scratch_load_b32 v0, off, off offset:264 th:TH_LOAD_LU ; 4-byte Folded Reload
	;; [unrolled: 4-line block ×4, first 2 shown]
	s_wait_loadcnt 0x0
	ds_store_b128 v0, v[29:32] offset:2496
	ds_store_b128 v0, v[68:71] offset:2704
	global_wb scope:SCOPE_SE
	s_wait_dscnt 0x0
	s_barrier_signal -1
	s_barrier_wait -1
	global_inv scope:SCOPE_SE
	ds_load_b128 v[0:3], v228 offset:416
	ds_load_b128 v[5:8], v228 offset:832
	;; [unrolled: 1-line block ×12, first 2 shown]
	s_wait_dscnt 0xb
	v_mul_f64_e32 v[37:38], v[102:103], v[2:3]
	s_wait_dscnt 0xa
	v_mul_f64_e32 v[41:42], v[122:123], v[7:8]
	v_mul_f64_e32 v[39:40], v[102:103], v[0:1]
	;; [unrolled: 1-line block ×3, first 2 shown]
	s_wait_dscnt 0x9
	v_mul_f64_e32 v[45:46], v[138:139], v[11:12]
	v_mul_f64_e32 v[47:48], v[138:139], v[9:10]
	s_wait_dscnt 0x8
	v_mul_f64_e32 v[49:50], v[134:135], v[15:16]
	v_mul_f64_e32 v[64:65], v[134:135], v[13:14]
	s_wait_dscnt 0x7
	v_mul_f64_e32 v[66:67], v[146:147], v[19:20]
	s_wait_dscnt 0x6
	;; [unrolled: 2-line block ×5, first 2 shown]
	v_mul_f64_e32 v[82:83], v[158:159], v[54:55]
	v_mul_f64_e32 v[84:85], v[158:159], v[52:53]
	;; [unrolled: 1-line block ×8, first 2 shown]
	v_fma_f64 v[0:1], v[100:101], v[0:1], v[37:38]
	v_fma_f64 v[5:6], v[120:121], v[5:6], v[41:42]
	s_wait_dscnt 0x1
	v_mul_f64_e32 v[37:38], v[170:171], v[58:59]
	s_wait_dscnt 0x0
	v_mul_f64_e32 v[41:42], v[166:167], v[62:63]
	v_fma_f64 v[2:3], v[100:101], v[2:3], -v[39:40]
	v_fma_f64 v[7:8], v[120:121], v[7:8], -v[43:44]
	v_mul_f64_e32 v[39:40], v[170:171], v[56:57]
	v_mul_f64_e32 v[43:44], v[166:167], v[60:61]
	v_fma_f64 v[9:10], v[136:137], v[9:10], v[45:46]
	v_fma_f64 v[11:12], v[136:137], v[11:12], -v[47:48]
	v_fma_f64 v[13:14], v[132:133], v[13:14], v[49:50]
	v_fma_f64 v[15:16], v[132:133], v[15:16], -v[64:65]
	v_fma_f64 v[17:18], v[144:145], v[17:18], v[66:67]
	v_fma_f64 v[21:22], v[140:141], v[21:22], v[70:71]
	v_fma_f64 v[25:26], v[152:153], v[25:26], v[74:75]
	v_fma_f64 v[29:30], v[148:149], v[29:30], v[78:79]
	v_fma_f64 v[45:46], v[156:157], v[52:53], v[82:83]
	v_fma_f64 v[47:48], v[156:157], v[54:55], -v[84:85]
	v_fma_f64 v[33:34], v[160:161], v[33:34], v[86:87]
	v_fma_f64 v[35:36], v[160:161], v[35:36], -v[88:89]
	v_fma_f64 v[19:20], v[144:145], v[19:20], -v[68:69]
	;; [unrolled: 1-line block ×5, first 2 shown]
	v_fma_f64 v[37:38], v[168:169], v[56:57], v[37:38]
	v_fma_f64 v[41:42], v[164:165], v[60:61], v[41:42]
	v_fma_f64 v[39:40], v[168:169], v[58:59], -v[39:40]
	v_fma_f64 v[43:44], v[164:165], v[62:63], -v[43:44]
	v_add_f64_e32 v[49:50], v[0:1], v[9:10]
	v_add_f64_e32 v[51:52], v[2:3], v[11:12]
	;; [unrolled: 1-line block ×4, first 2 shown]
	v_add_f64_e64 v[13:14], v[5:6], -v[13:14]
	v_add_f64_e64 v[15:16], v[7:8], -v[15:16]
	v_add_f64_e32 v[55:56], v[17:18], v[25:26]
	v_add_f64_e32 v[59:60], v[21:22], v[29:30]
	v_add_f64_e64 v[9:10], v[0:1], -v[9:10]
	v_add_f64_e64 v[21:22], v[21:22], -v[29:30]
	v_add_f64_e32 v[66:67], v[45:46], v[33:34]
	v_add_f64_e32 v[68:69], v[47:48], v[35:36]
	v_add_f64_e64 v[35:36], v[35:36], -v[47:48]
	v_add_f64_e64 v[33:34], v[33:34], -v[45:46]
	v_add_f64_e32 v[57:58], v[19:20], v[27:28]
	v_add_f64_e32 v[61:62], v[23:24], v[31:32]
	v_add_f64_e64 v[23:24], v[23:24], -v[31:32]
	v_add_f64_e64 v[11:12], v[2:3], -v[11:12]
	;; [unrolled: 1-line block ×4, first 2 shown]
	v_add_f64_e32 v[5:6], v[37:38], v[41:42]
	v_add_f64_e64 v[29:30], v[41:42], -v[37:38]
	v_add_f64_e32 v[7:8], v[39:40], v[43:44]
	v_add_f64_e64 v[31:32], v[43:44], -v[39:40]
	v_add_f64_e32 v[0:1], v[53:54], v[49:50]
	v_add_f64_e32 v[2:3], v[64:65], v[51:52]
	;; [unrolled: 1-line block ×3, first 2 shown]
	v_add_f64_e64 v[70:71], v[13:14], -v[9:10]
	v_add_f64_e64 v[37:38], v[49:50], -v[66:67]
	;; [unrolled: 1-line block ×6, first 2 shown]
	v_add_f64_e32 v[27:28], v[61:62], v[57:58]
	v_add_f64_e64 v[43:44], v[68:69], -v[64:65]
	v_add_f64_e64 v[72:73], v[15:16], -v[11:12]
	;; [unrolled: 1-line block ×5, first 2 shown]
	v_add_f64_e32 v[13:14], v[33:34], v[13:14]
	v_add_f64_e32 v[15:16], v[35:36], v[15:16]
	v_add_f64_e64 v[35:36], v[11:12], -v[35:36]
	v_add_f64_e64 v[33:34], v[9:10], -v[33:34]
	;; [unrolled: 1-line block ×6, first 2 shown]
	v_add_f64_e32 v[21:22], v[29:30], v[21:22]
	v_add_f64_e64 v[76:77], v[57:58], -v[7:8]
	v_add_f64_e64 v[80:81], v[31:32], -v[23:24]
	v_add_f64_e32 v[23:24], v[31:32], v[23:24]
	v_add_f64_e64 v[55:56], v[59:60], -v[55:56]
	v_add_f64_e32 v[66:67], v[66:67], v[0:1]
	v_add_f64_e32 v[68:69], v[68:69], v[2:3]
	v_add_f64_e64 v[88:89], v[7:8], -v[61:62]
	v_add_f64_e64 v[29:30], v[17:18], -v[29:30]
	v_add_f64_e32 v[25:26], v[5:6], v[25:26]
	v_mul_f64_e32 v[90:91], s[10:11], v[70:71]
	v_add_f64_e64 v[31:32], v[19:20], -v[31:32]
	v_mul_f64_e32 v[37:38], s[0:1], v[37:38]
	v_mul_f64_e32 v[39:40], s[0:1], v[39:40]
	;; [unrolled: 1-line block ×5, first 2 shown]
	v_add_f64_e32 v[27:28], v[7:8], v[27:28]
	ds_load_b128 v[0:3], v228
	ds_load_b128 v[5:8], v228 offset:208
	v_mul_f64_e32 v[63:64], s[2:3], v[43:44]
	v_mul_f64_e32 v[92:93], s[10:11], v[72:73]
	;; [unrolled: 1-line block ×4, first 2 shown]
	v_add_f64_e32 v[9:10], v[13:14], v[9:10]
	v_add_f64_e32 v[11:12], v[15:16], v[11:12]
	v_add_f64_e64 v[57:58], v[61:62], -v[57:58]
	v_mul_f64_e32 v[74:75], s[0:1], v[74:75]
	v_mul_f64_e32 v[59:60], s[2:3], v[86:87]
	;; [unrolled: 1-line block ×3, first 2 shown]
	v_add_f64_e32 v[13:14], v[21:22], v[17:18]
	v_mul_f64_e32 v[76:77], s[0:1], v[76:77]
	s_mov_b32 s0, 0x5476071b
	v_mul_f64_e32 v[80:81], s[8:9], v[80:81]
	s_mov_b32 s1, 0x3fe77f67
	s_mov_b32 s9, 0xbfe77f67
	s_wait_alu 0xfffe
	s_mov_b32 s8, s0
	v_add_f64_e32 v[15:16], v[23:24], v[19:20]
	s_wait_dscnt 0x1
	v_add_f64_e32 v[0:1], v[0:1], v[66:67]
	v_add_f64_e32 v[2:3], v[2:3], v[68:69]
	s_wait_dscnt 0x0
	v_add_f64_e32 v[5:6], v[5:6], v[25:26]
	v_mul_f64_e32 v[61:62], s[2:3], v[88:89]
	v_fma_f64 v[17:18], v[41:42], s[2:3], v[37:38]
	v_fma_f64 v[19:20], v[43:44], s[2:3], v[39:40]
	v_fma_f64 v[21:22], v[49:50], s[0:1], -v[53:54]
	v_fma_f64 v[43:44], v[35:36], s[14:15], v[47:48]
	v_fma_f64 v[47:48], v[72:73], s[10:11], -v[47:48]
	s_wait_alu 0xfffe
	v_fma_f64 v[37:38], v[49:50], s[8:9], -v[37:38]
	v_fma_f64 v[41:42], v[33:34], s[14:15], v[45:46]
	v_fma_f64 v[33:34], v[33:34], s[16:17], -v[90:91]
	v_add_f64_e32 v[7:8], v[7:8], v[27:28]
	v_fma_f64 v[23:24], v[51:52], s[0:1], -v[63:64]
	v_fma_f64 v[35:36], v[35:36], s[16:17], -v[92:93]
	scratch_load_b32 v90, off, off th:TH_LOAD_LU ; 4-byte Folded Reload
	v_fma_f64 v[39:40], v[51:52], s[8:9], -v[39:40]
	v_fma_f64 v[45:46], v[70:71], s[10:11], -v[45:46]
	v_fma_f64 v[49:50], v[86:87], s[2:3], v[74:75]
	v_fma_f64 v[73:74], v[55:56], s[8:9], -v[74:75]
	v_fma_f64 v[55:56], v[55:56], s[0:1], -v[59:60]
	scratch_load_b64 v[59:60], off, off offset:200 th:TH_LOAD_LU ; 8-byte Folded Reload
	v_fma_f64 v[51:52], v[88:89], s[2:3], v[76:77]
	v_fma_f64 v[75:76], v[57:58], s[8:9], -v[76:77]
	v_fma_f64 v[71:72], v[84:85], s[10:11], -v[80:81]
	s_mov_b32 s2, 0x16816817
	s_mov_b32 s3, 0x3f768168
	v_fma_f64 v[53:54], v[66:67], s[12:13], v[0:1]
	v_fma_f64 v[63:64], v[68:69], s[12:13], v[2:3]
	;; [unrolled: 1-line block ×5, first 2 shown]
	v_fma_f64 v[69:70], v[82:83], s[10:11], -v[78:79]
	v_fma_f64 v[29:30], v[29:30], s[16:17], -v[94:95]
	;; [unrolled: 1-line block ×4, first 2 shown]
	s_mov_b32 s0, 0x37c3f68c
	s_mov_b32 s1, 0xbfdc38aa
	v_fma_f64 v[27:28], v[27:28], s[12:13], v[7:8]
	s_wait_alu 0xfffe
	v_fma_f64 v[41:42], v[9:10], s[0:1], v[41:42]
	v_fma_f64 v[43:44], v[11:12], s[0:1], v[43:44]
	;; [unrolled: 1-line block ×6, first 2 shown]
	v_add_f64_e32 v[77:78], v[17:18], v[53:54]
	v_add_f64_e32 v[79:80], v[19:20], v[63:64]
	;; [unrolled: 1-line block ×6, first 2 shown]
	v_fma_f64 v[81:82], v[13:14], s[0:1], v[65:66]
	v_fma_f64 v[83:84], v[15:16], s[0:1], v[67:68]
	v_add_f64_e32 v[49:50], v[49:50], v[25:26]
	v_fma_f64 v[64:65], v[13:14], s[0:1], v[69:70]
	v_fma_f64 v[66:67], v[15:16], s[0:1], v[71:72]
	v_fma_f64 v[68:69], v[13:14], s[0:1], v[29:30]
	v_add_f64_e32 v[51:52], v[51:52], v[27:28]
	v_fma_f64 v[70:71], v[15:16], s[0:1], v[31:32]
	v_add_f64_e32 v[72:73], v[73:74], v[25:26]
	v_add_f64_e32 v[74:75], v[75:76], v[27:28]
	;; [unrolled: 1-line block ×4, first 2 shown]
	v_add_f64_e64 v[29:30], v[77:78], -v[43:44]
	v_add_f64_e32 v[31:32], v[41:42], v[79:80]
	v_add_f64_e32 v[13:14], v[35:36], v[37:38]
	v_add_f64_e64 v[15:16], v[39:40], -v[33:34]
	v_add_f64_e64 v[17:18], v[21:22], -v[47:48]
	v_add_f64_e32 v[19:20], v[45:46], v[23:24]
	v_add_f64_e32 v[21:22], v[47:48], v[21:22]
	v_add_f64_e64 v[23:24], v[23:24], -v[45:46]
	;; [unrolled: 4-line block ×3, first 2 shown]
	v_add_f64_e32 v[54:55], v[70:71], v[72:73]
	v_add_f64_e64 v[56:57], v[74:75], -v[68:69]
	v_add_f64_e32 v[68:69], v[68:69], v[74:75]
	s_wait_loadcnt 0x1
	v_mad_co_u64_u32 v[61:62], null, s4, v90, 0
	s_delay_alu instid0(VALU_DEP_1) | instskip(SKIP_2) | instid1(VALU_DEP_1)
	v_mov_b32_e32 v9, v62
	s_wait_loadcnt 0x0
	v_mov_b32_e32 v89, v59
	v_mad_co_u64_u32 v[59:60], null, s6, v89, 0
	s_delay_alu instid0(VALU_DEP_1) | instskip(SKIP_1) | instid1(VALU_DEP_1)
	v_mad_co_u64_u32 v[10:11], null, s7, v89, v[60:61]
	s_mul_u64 s[6:7], s[4:5], 0xe0
	v_mov_b32_e32 v60, v10
	v_mad_co_u64_u32 v[11:12], null, s5, v90, v[9:10]
	v_add_f64_e32 v[9:10], v[43:44], v[77:78]
	s_delay_alu instid0(VALU_DEP_3) | instskip(SKIP_1) | instid1(VALU_DEP_4)
	v_lshlrev_b64_e32 v[89:90], 4, v[59:60]
	v_add_f64_e64 v[58:59], v[85:86], -v[66:67]
	v_mov_b32_e32 v62, v11
	v_add_f64_e64 v[11:12], v[79:80], -v[41:42]
	s_delay_alu instid0(VALU_DEP_2)
	v_lshlrev_b64_e32 v[91:92], 4, v[61:62]
	v_add_f64_e32 v[60:61], v[64:65], v[87:88]
	v_add_f64_e32 v[62:63], v[66:67], v[85:86]
	v_add_f64_e64 v[64:65], v[87:88], -v[64:65]
	v_add_f64_e64 v[66:67], v[72:73], -v[70:71]
	;; [unrolled: 1-line block ×3, first 2 shown]
	v_add_f64_e32 v[72:73], v[81:82], v[51:52]
	v_add_co_u32 v52, s0, s64, v89
	s_wait_alu 0xf1ff
	v_add_co_ci_u32_e64 v53, s0, s65, v90, s0
	ds_store_b128 v228, v[0:3]
	ds_store_b128 v228, v[5:8] offset:208
	ds_store_b128 v228, v[9:12] offset:416
	;; [unrolled: 1-line block ×13, first 2 shown]
	global_wb scope:SCOPE_SE
	s_wait_dscnt 0x0
	s_barrier_signal -1
	s_barrier_wait -1
	global_inv scope:SCOPE_SE
	ds_load_b128 v[0:3], v228
	ds_load_b128 v[4:7], v228 offset:224
	ds_load_b128 v[8:11], v228 offset:448
	;; [unrolled: 1-line block ×12, first 2 shown]
	scratch_load_b128 v[142:145], off, off offset:136 th:TH_LOAD_LU ; 16-byte Folded Reload
	v_add_co_u32 v74, s0, v52, v91
	s_wait_alu 0xf1ff
	v_add_co_ci_u32_e64 v75, s0, v53, v92, s0
	s_clause 0x2
	scratch_load_b128 v[124:127], off, off offset:40 th:TH_LOAD_LU
	scratch_load_b128 v[134:137], off, off offset:88 th:TH_LOAD_LU
	;; [unrolled: 1-line block ×3, first 2 shown]
	s_wait_alu 0xfffe
	v_add_co_u32 v76, s0, v74, s6
	s_wait_alu 0xf1ff
	v_add_co_ci_u32_e64 v77, s0, s7, v75, s0
	scratch_load_b128 v[154:157], off, off offset:224 th:TH_LOAD_LU ; 16-byte Folded Reload
	v_add_co_u32 v78, s0, v76, s6
	s_wait_alu 0xf1ff
	v_add_co_ci_u32_e64 v79, s0, s7, v77, s0
	s_delay_alu instid0(VALU_DEP_2) | instskip(SKIP_1) | instid1(VALU_DEP_2)
	v_add_co_u32 v80, s0, v78, s6
	s_wait_alu 0xf1ff
	v_add_co_ci_u32_e64 v81, s0, s7, v79, s0
	s_delay_alu instid0(VALU_DEP_2) | instskip(SKIP_1) | instid1(VALU_DEP_2)
	;; [unrolled: 4-line block ×5, first 2 shown]
	v_add_co_u32 v120, s0, v118, s6
	s_wait_alu 0xf1ff
	v_add_co_ci_u32_e64 v121, s0, s7, v119, s0
	s_delay_alu instid0(VALU_DEP_1)
	v_mad_co_u64_u32 v[122:123], null, 0x1c0, s4, v[120:121]
	s_wait_loadcnt_dscnt 0x408
	v_mul_f64_e32 v[82:83], v[144:145], v[18:19]
	v_mul_f64_e32 v[84:85], v[144:145], v[16:17]
	scratch_load_b128 v[144:147], off, off offset:152 th:TH_LOAD_LU ; 16-byte Folded Reload
	s_wait_loadcnt 0x4
	v_mul_f64_e32 v[44:45], v[126:127], v[6:7]
	v_mul_f64_e32 v[46:47], v[126:127], v[4:5]
	s_wait_loadcnt 0x3
	v_mul_f64_e32 v[48:49], v[136:137], v[10:11]
	v_mul_f64_e32 v[50:51], v[136:137], v[8:9]
	scratch_load_b128 v[136:139], off, off offset:104 th:TH_LOAD_LU ; 16-byte Folded Reload
	s_wait_loadcnt_dscnt 0x202
	v_mul_f64_e32 v[106:107], v[156:157], v[56:57]
	v_mul_f64_e32 v[108:109], v[156:157], v[54:55]
	scratch_load_b128 v[156:159], off, off offset:240 th:TH_LOAD_LU ; 16-byte Folded Reload
	v_fma_f64 v[16:17], v[142:143], v[16:17], v[82:83]
	v_fma_f64 v[18:19], v[142:143], v[18:19], -v[84:85]
	v_fma_f64 v[4:5], v[124:125], v[4:5], v[44:45]
	v_fma_f64 v[6:7], v[124:125], v[6:7], -v[46:47]
	;; [unrolled: 2-line block ×3, first 2 shown]
	v_mul_f64_e32 v[16:17], s[2:3], v[16:17]
	v_mul_f64_e32 v[18:19], s[2:3], v[18:19]
	;; [unrolled: 1-line block ×6, first 2 shown]
	s_wait_loadcnt 0x2
	v_mul_f64_e32 v[90:91], v[146:147], v[26:27]
	v_mul_f64_e32 v[92:93], v[146:147], v[24:25]
	scratch_load_b128 v[146:149], off, off offset:168 th:TH_LOAD_LU ; 16-byte Folded Reload
	s_wait_loadcnt 0x2
	v_mul_f64_e32 v[86:87], v[138:139], v[22:23]
	v_mul_f64_e32 v[88:89], v[138:139], v[20:21]
	scratch_load_b128 v[138:141], off, off offset:120 th:TH_LOAD_LU ; 16-byte Folded Reload
	s_wait_loadcnt_dscnt 0x200
	v_mul_f64_e32 v[114:115], v[158:159], v[64:65]
	v_mul_f64_e32 v[116:117], v[158:159], v[62:63]
	v_fma_f64 v[24:25], v[144:145], v[24:25], v[90:91]
	v_fma_f64 v[26:27], v[144:145], v[26:27], -v[92:93]
	v_fma_f64 v[20:21], v[136:137], v[20:21], v[86:87]
	v_fma_f64 v[22:23], v[136:137], v[22:23], -v[88:89]
	;; [unrolled: 2-line block ×3, first 2 shown]
	v_mul_f64_e32 v[24:25], s[2:3], v[24:25]
	v_mul_f64_e32 v[26:27], s[2:3], v[26:27]
	;; [unrolled: 1-line block ×6, first 2 shown]
	s_wait_loadcnt 0x1
	v_mul_f64_e32 v[98:99], v[148:149], v[34:35]
	v_mul_f64_e32 v[100:101], v[148:149], v[32:33]
	scratch_load_b128 v[148:151], off, off offset:184 th:TH_LOAD_LU ; 16-byte Folded Reload
	s_wait_loadcnt 0x1
	v_mul_f64_e32 v[94:95], v[140:141], v[30:31]
	v_mul_f64_e32 v[96:97], v[140:141], v[28:29]
	v_fma_f64 v[32:33], v[146:147], v[32:33], v[98:99]
	v_fma_f64 v[34:35], v[146:147], v[34:35], -v[100:101]
	s_delay_alu instid0(VALU_DEP_4) | instskip(NEXT) | instid1(VALU_DEP_4)
	v_fma_f64 v[28:29], v[138:139], v[28:29], v[94:95]
	v_fma_f64 v[30:31], v[138:139], v[30:31], -v[96:97]
	s_delay_alu instid0(VALU_DEP_4) | instskip(NEXT) | instid1(VALU_DEP_4)
	v_mul_f64_e32 v[32:33], s[2:3], v[32:33]
	v_mul_f64_e32 v[34:35], s[2:3], v[34:35]
	s_delay_alu instid0(VALU_DEP_4) | instskip(NEXT) | instid1(VALU_DEP_4)
	v_mul_f64_e32 v[28:29], s[2:3], v[28:29]
	v_mul_f64_e32 v[30:31], s[2:3], v[30:31]
	s_wait_loadcnt 0x0
	v_mul_f64_e32 v[102:103], v[150:151], v[38:39]
	v_mul_f64_e32 v[104:105], v[150:151], v[36:37]
	scratch_load_b128 v[150:153], off, off offset:208 th:TH_LOAD_LU ; 16-byte Folded Reload
	v_fma_f64 v[36:37], v[148:149], v[36:37], v[102:103]
	v_fma_f64 v[38:39], v[148:149], v[38:39], -v[104:105]
	s_delay_alu instid0(VALU_DEP_2) | instskip(NEXT) | instid1(VALU_DEP_2)
	v_mul_f64_e32 v[36:37], s[2:3], v[36:37]
	v_mul_f64_e32 v[38:39], s[2:3], v[38:39]
	s_wait_loadcnt 0x0
	v_mul_f64_e32 v[110:111], v[152:153], v[60:61]
	v_mul_f64_e32 v[112:113], v[152:153], v[58:59]
	s_delay_alu instid0(VALU_DEP_2)
	v_fma_f64 v[44:45], v[150:151], v[58:59], v[110:111]
	scratch_load_b32 v58, off, off offset:36 th:TH_LOAD_LU ; 4-byte Folded Reload
	v_mul_f64_e32 v[40:41], v[130:131], v[2:3]
	v_mul_f64_e32 v[42:43], v[130:131], v[0:1]
	scratch_load_b128 v[130:133], off, off offset:72 th:TH_LOAD_LU ; 16-byte Folded Reload
	v_fma_f64 v[46:47], v[150:151], v[60:61], -v[112:113]
	v_mul_f64_e32 v[44:45], s[2:3], v[44:45]
	v_fma_f64 v[0:1], v[128:129], v[0:1], v[40:41]
	v_fma_f64 v[2:3], v[128:129], v[2:3], -v[42:43]
	v_fma_f64 v[40:41], v[154:155], v[54:55], v[106:107]
	v_fma_f64 v[42:43], v[154:155], v[56:57], -v[108:109]
	v_mov_b32_e32 v56, v123
	v_mul_f64_e32 v[46:47], s[2:3], v[46:47]
	s_delay_alu instid0(VALU_DEP_2) | instskip(NEXT) | instid1(VALU_DEP_1)
	v_mad_co_u64_u32 v[56:57], null, 0x1c0, s5, v[56:57]
	v_mov_b32_e32 v123, v56
	v_mul_f64_e32 v[0:1], s[2:3], v[0:1]
	v_mul_f64_e32 v[2:3], s[2:3], v[2:3]
	;; [unrolled: 1-line block ×4, first 2 shown]
	s_wait_loadcnt 0x1
	v_mad_co_u64_u32 v[54:55], null, s4, v58, 0
	s_wait_loadcnt 0x0
	v_mul_f64_e32 v[70:71], v[132:133], v[14:15]
	v_mul_f64_e32 v[72:73], v[132:133], v[12:13]
	s_delay_alu instid0(VALU_DEP_3) | instskip(SKIP_1) | instid1(VALU_DEP_2)
	v_mad_co_u64_u32 v[57:58], null, s5, v58, v[55:56]
	v_add_co_u32 v56, s0, v122, s6
	v_mov_b32_e32 v55, v57
	s_wait_alu 0xf1ff
	v_add_co_ci_u32_e64 v57, s0, s7, v123, s0
	s_delay_alu instid0(VALU_DEP_3) | instskip(NEXT) | instid1(VALU_DEP_3)
	v_add_co_u32 v58, s0, v56, s6
	v_lshlrev_b64_e32 v[54:55], 4, v[54:55]
	s_wait_alu 0xf1ff
	s_delay_alu instid0(VALU_DEP_3) | instskip(NEXT) | instid1(VALU_DEP_2)
	v_add_co_ci_u32_e64 v59, s0, s7, v57, s0
	v_add_co_u32 v54, s0, v52, v54
	s_wait_alu 0xf1ff
	s_delay_alu instid0(VALU_DEP_3)
	v_add_co_ci_u32_e64 v55, s0, v53, v55, s0
	v_add_co_u32 v60, s0, v58, s6
	s_wait_alu 0xf1ff
	v_add_co_ci_u32_e64 v61, s0, s7, v59, s0
	v_fma_f64 v[12:13], v[130:131], v[12:13], v[70:71]
	v_fma_f64 v[14:15], v[130:131], v[14:15], -v[72:73]
	s_delay_alu instid0(VALU_DEP_2) | instskip(NEXT) | instid1(VALU_DEP_2)
	v_mul_f64_e32 v[12:13], s[2:3], v[12:13]
	v_mul_f64_e32 v[14:15], s[2:3], v[14:15]
	s_clause 0x4
	global_store_b128 v[74:75], v[0:3], off
	global_store_b128 v[76:77], v[4:7], off
	;; [unrolled: 1-line block ×13, first 2 shown]
	s_and_b32 exec_lo, exec_lo, vcc_lo
	s_cbranch_execz .LBB0_15
; %bb.14:
	s_load_b128 s[8:11], s[34:35], 0xd0
	ds_load_b128 v[0:3], v255 offset:208
	ds_load_b128 v[4:7], v255 offset:432
	s_wait_dscnt 0x1
	s_wait_kmcnt 0x0
	v_mul_f64_e32 v[8:9], s[10:11], v[2:3]
	v_mul_f64_e32 v[10:11], s[10:11], v[0:1]
	s_delay_alu instid0(VALU_DEP_2) | instskip(NEXT) | instid1(VALU_DEP_2)
	v_fma_f64 v[0:1], v[0:1], s[8:9], v[8:9]
	v_fma_f64 v[2:3], s[8:9], v[2:3], -v[10:11]
	v_mad_co_u64_u32 v[8:9], null, 0xd0, s4, v[52:53]
	s_delay_alu instid0(VALU_DEP_1) | instskip(NEXT) | instid1(VALU_DEP_4)
	v_mad_co_u64_u32 v[9:10], null, 0xd0, s5, v[9:10]
	v_mul_f64_e32 v[0:1], s[2:3], v[0:1]
	s_delay_alu instid0(VALU_DEP_4)
	v_mul_f64_e32 v[2:3], s[2:3], v[2:3]
	global_store_b128 v[8:9], v[0:3], off
	s_load_b128 s[8:11], s[34:35], 0x1b0
	s_wait_dscnt 0x0
	s_wait_kmcnt 0x0
	v_mul_f64_e32 v[0:1], s[10:11], v[6:7]
	v_mul_f64_e32 v[2:3], s[10:11], v[4:5]
	s_delay_alu instid0(VALU_DEP_2) | instskip(NEXT) | instid1(VALU_DEP_2)
	v_fma_f64 v[0:1], v[4:5], s[8:9], v[0:1]
	v_fma_f64 v[2:3], s[8:9], v[6:7], -v[2:3]
	v_mad_co_u64_u32 v[4:5], null, 0x1b0, s4, v[52:53]
	s_delay_alu instid0(VALU_DEP_1) | instskip(NEXT) | instid1(VALU_DEP_4)
	v_mad_co_u64_u32 v[5:6], null, 0x1b0, s5, v[5:6]
	v_mul_f64_e32 v[0:1], s[2:3], v[0:1]
	s_delay_alu instid0(VALU_DEP_4)
	v_mul_f64_e32 v[2:3], s[2:3], v[2:3]
	global_store_b128 v[4:5], v[0:3], off
	s_load_b128 s[8:11], s[34:35], 0x290
	ds_load_b128 v[0:3], v255 offset:656
	ds_load_b128 v[4:7], v255 offset:880
	s_wait_dscnt 0x1
	s_wait_kmcnt 0x0
	v_mul_f64_e32 v[8:9], s[10:11], v[2:3]
	v_mul_f64_e32 v[10:11], s[10:11], v[0:1]
	s_delay_alu instid0(VALU_DEP_2) | instskip(NEXT) | instid1(VALU_DEP_2)
	v_fma_f64 v[0:1], v[0:1], s[8:9], v[8:9]
	v_fma_f64 v[2:3], s[8:9], v[2:3], -v[10:11]
	v_mad_co_u64_u32 v[8:9], null, 0x290, s4, v[52:53]
	s_delay_alu instid0(VALU_DEP_1) | instskip(NEXT) | instid1(VALU_DEP_4)
	v_mad_co_u64_u32 v[9:10], null, 0x290, s5, v[9:10]
	v_mul_f64_e32 v[0:1], s[2:3], v[0:1]
	s_delay_alu instid0(VALU_DEP_4)
	v_mul_f64_e32 v[2:3], s[2:3], v[2:3]
	global_store_b128 v[8:9], v[0:3], off
	s_load_b128 s[8:11], s[34:35], 0x370
	s_wait_dscnt 0x0
	s_wait_kmcnt 0x0
	v_mul_f64_e32 v[0:1], s[10:11], v[6:7]
	v_mul_f64_e32 v[2:3], s[10:11], v[4:5]
	s_delay_alu instid0(VALU_DEP_2) | instskip(NEXT) | instid1(VALU_DEP_2)
	v_fma_f64 v[0:1], v[4:5], s[8:9], v[0:1]
	v_fma_f64 v[2:3], s[8:9], v[6:7], -v[2:3]
	v_mad_co_u64_u32 v[4:5], null, 0x370, s4, v[52:53]
	s_delay_alu instid0(VALU_DEP_1) | instskip(NEXT) | instid1(VALU_DEP_4)
	v_mad_co_u64_u32 v[5:6], null, 0x370, s5, v[5:6]
	v_mul_f64_e32 v[0:1], s[2:3], v[0:1]
	s_delay_alu instid0(VALU_DEP_4)
	v_mul_f64_e32 v[2:3], s[2:3], v[2:3]
	global_store_b128 v[4:5], v[0:3], off
	;; [unrolled: 32-line block ×5, first 2 shown]
	s_load_b128 s[8:11], s[34:35], 0x990
	ds_load_b128 v[0:3], v255 offset:2448
	ds_load_b128 v[4:7], v255 offset:2672
	s_wait_dscnt 0x1
	s_wait_kmcnt 0x0
	v_mul_f64_e32 v[8:9], s[10:11], v[2:3]
	v_mul_f64_e32 v[10:11], s[10:11], v[0:1]
	s_delay_alu instid0(VALU_DEP_2) | instskip(NEXT) | instid1(VALU_DEP_2)
	v_fma_f64 v[0:1], v[0:1], s[8:9], v[8:9]
	v_fma_f64 v[2:3], s[8:9], v[2:3], -v[10:11]
	v_mad_co_u64_u32 v[8:9], null, 0x990, s4, v[52:53]
	s_delay_alu instid0(VALU_DEP_1) | instskip(NEXT) | instid1(VALU_DEP_4)
	v_mad_co_u64_u32 v[9:10], null, 0x990, s5, v[9:10]
	v_mul_f64_e32 v[0:1], s[2:3], v[0:1]
	s_delay_alu instid0(VALU_DEP_4)
	v_mul_f64_e32 v[2:3], s[2:3], v[2:3]
	global_store_b128 v[8:9], v[0:3], off
	s_load_b128 s[8:11], s[34:35], 0xa70
	v_mad_co_u64_u32 v[8:9], null, 0xa70, s4, v[52:53]
	s_wait_dscnt 0x0
	s_wait_kmcnt 0x0
	v_mul_f64_e32 v[0:1], s[10:11], v[6:7]
	v_mul_f64_e32 v[2:3], s[10:11], v[4:5]
	s_delay_alu instid0(VALU_DEP_2) | instskip(NEXT) | instid1(VALU_DEP_2)
	v_fma_f64 v[0:1], v[4:5], s[8:9], v[0:1]
	v_fma_f64 v[2:3], s[8:9], v[6:7], -v[2:3]
	v_mov_b32_e32 v4, v9
	s_delay_alu instid0(VALU_DEP_1) | instskip(NEXT) | instid1(VALU_DEP_1)
	v_mad_co_u64_u32 v[4:5], null, 0xa70, s5, v[4:5]
	v_mov_b32_e32 v9, v4
	ds_load_b128 v[4:7], v255 offset:2896
	v_mul_f64_e32 v[0:1], s[2:3], v[0:1]
	v_mul_f64_e32 v[2:3], s[2:3], v[2:3]
	global_store_b128 v[8:9], v[0:3], off
	s_load_b128 s[8:11], s[34:35], 0xb50
	s_wait_dscnt 0x0
	s_wait_kmcnt 0x0
	v_mul_f64_e32 v[0:1], s[10:11], v[6:7]
	v_mul_f64_e32 v[2:3], s[10:11], v[4:5]
	s_delay_alu instid0(VALU_DEP_2) | instskip(NEXT) | instid1(VALU_DEP_2)
	v_fma_f64 v[0:1], v[4:5], s[8:9], v[0:1]
	v_fma_f64 v[2:3], s[8:9], v[6:7], -v[2:3]
	v_mad_co_u64_u32 v[4:5], null, 0xb50, s4, v[52:53]
                                        ; kill: def $vgpr6 killed $sgpr0 killed $exec
	s_delay_alu instid0(VALU_DEP_1) | instskip(NEXT) | instid1(VALU_DEP_4)
	v_mad_co_u64_u32 v[5:6], null, 0xb50, s5, v[5:6]
	v_mul_f64_e32 v[0:1], s[2:3], v[0:1]
	s_delay_alu instid0(VALU_DEP_4)
	v_mul_f64_e32 v[2:3], s[2:3], v[2:3]
	global_store_b128 v[4:5], v[0:3], off
.LBB0_15:
	s_nop 0
	s_sendmsg sendmsg(MSG_DEALLOC_VGPRS)
	s_endpgm
	.section	.rodata,"a",@progbits
	.p2align	6, 0x0
	.amdhsa_kernel bluestein_single_back_len182_dim1_dp_op_CI_CI
		.amdhsa_group_segment_fixed_size 11648
		.amdhsa_private_segment_fixed_size 280
		.amdhsa_kernarg_size 104
		.amdhsa_user_sgpr_count 2
		.amdhsa_user_sgpr_dispatch_ptr 0
		.amdhsa_user_sgpr_queue_ptr 0
		.amdhsa_user_sgpr_kernarg_segment_ptr 1
		.amdhsa_user_sgpr_dispatch_id 0
		.amdhsa_user_sgpr_private_segment_size 0
		.amdhsa_wavefront_size32 1
		.amdhsa_uses_dynamic_stack 0
		.amdhsa_enable_private_segment 1
		.amdhsa_system_sgpr_workgroup_id_x 1
		.amdhsa_system_sgpr_workgroup_id_y 0
		.amdhsa_system_sgpr_workgroup_id_z 0
		.amdhsa_system_sgpr_workgroup_info 0
		.amdhsa_system_vgpr_workitem_id 0
		.amdhsa_next_free_vgpr 256
		.amdhsa_next_free_sgpr 66
		.amdhsa_reserve_vcc 1
		.amdhsa_float_round_mode_32 0
		.amdhsa_float_round_mode_16_64 0
		.amdhsa_float_denorm_mode_32 3
		.amdhsa_float_denorm_mode_16_64 3
		.amdhsa_fp16_overflow 0
		.amdhsa_workgroup_processor_mode 1
		.amdhsa_memory_ordered 1
		.amdhsa_forward_progress 0
		.amdhsa_round_robin_scheduling 0
		.amdhsa_exception_fp_ieee_invalid_op 0
		.amdhsa_exception_fp_denorm_src 0
		.amdhsa_exception_fp_ieee_div_zero 0
		.amdhsa_exception_fp_ieee_overflow 0
		.amdhsa_exception_fp_ieee_underflow 0
		.amdhsa_exception_fp_ieee_inexact 0
		.amdhsa_exception_int_div_zero 0
	.end_amdhsa_kernel
	.text
.Lfunc_end0:
	.size	bluestein_single_back_len182_dim1_dp_op_CI_CI, .Lfunc_end0-bluestein_single_back_len182_dim1_dp_op_CI_CI
                                        ; -- End function
	.section	.AMDGPU.csdata,"",@progbits
; Kernel info:
; codeLenInByte = 25140
; NumSgprs: 68
; NumVgprs: 256
; ScratchSize: 280
; MemoryBound: 0
; FloatMode: 240
; IeeeMode: 1
; LDSByteSize: 11648 bytes/workgroup (compile time only)
; SGPRBlocks: 8
; VGPRBlocks: 31
; NumSGPRsForWavesPerEU: 68
; NumVGPRsForWavesPerEU: 256
; Occupancy: 5
; WaveLimiterHint : 1
; COMPUTE_PGM_RSRC2:SCRATCH_EN: 1
; COMPUTE_PGM_RSRC2:USER_SGPR: 2
; COMPUTE_PGM_RSRC2:TRAP_HANDLER: 0
; COMPUTE_PGM_RSRC2:TGID_X_EN: 1
; COMPUTE_PGM_RSRC2:TGID_Y_EN: 0
; COMPUTE_PGM_RSRC2:TGID_Z_EN: 0
; COMPUTE_PGM_RSRC2:TIDIG_COMP_CNT: 0
	.text
	.p2alignl 7, 3214868480
	.fill 96, 4, 3214868480
	.type	__hip_cuid_e16eccebbfb1f85c,@object ; @__hip_cuid_e16eccebbfb1f85c
	.section	.bss,"aw",@nobits
	.globl	__hip_cuid_e16eccebbfb1f85c
__hip_cuid_e16eccebbfb1f85c:
	.byte	0                               ; 0x0
	.size	__hip_cuid_e16eccebbfb1f85c, 1

	.ident	"AMD clang version 19.0.0git (https://github.com/RadeonOpenCompute/llvm-project roc-6.4.0 25133 c7fe45cf4b819c5991fe208aaa96edf142730f1d)"
	.section	".note.GNU-stack","",@progbits
	.addrsig
	.addrsig_sym __hip_cuid_e16eccebbfb1f85c
	.amdgpu_metadata
---
amdhsa.kernels:
  - .args:
      - .actual_access:  read_only
        .address_space:  global
        .offset:         0
        .size:           8
        .value_kind:     global_buffer
      - .actual_access:  read_only
        .address_space:  global
        .offset:         8
        .size:           8
        .value_kind:     global_buffer
      - .actual_access:  read_only
        .address_space:  global
        .offset:         16
        .size:           8
        .value_kind:     global_buffer
      - .actual_access:  read_only
        .address_space:  global
        .offset:         24
        .size:           8
        .value_kind:     global_buffer
      - .actual_access:  read_only
        .address_space:  global
        .offset:         32
        .size:           8
        .value_kind:     global_buffer
      - .offset:         40
        .size:           8
        .value_kind:     by_value
      - .address_space:  global
        .offset:         48
        .size:           8
        .value_kind:     global_buffer
      - .address_space:  global
        .offset:         56
        .size:           8
        .value_kind:     global_buffer
      - .address_space:  global
        .offset:         64
        .size:           8
        .value_kind:     global_buffer
      - .address_space:  global
        .offset:         72
        .size:           8
        .value_kind:     global_buffer
      - .offset:         80
        .size:           4
        .value_kind:     by_value
      - .address_space:  global
        .offset:         88
        .size:           8
        .value_kind:     global_buffer
      - .address_space:  global
        .offset:         96
        .size:           8
        .value_kind:     global_buffer
    .group_segment_fixed_size: 11648
    .kernarg_segment_align: 8
    .kernarg_segment_size: 104
    .language:       OpenCL C
    .language_version:
      - 2
      - 0
    .max_flat_workgroup_size: 52
    .name:           bluestein_single_back_len182_dim1_dp_op_CI_CI
    .private_segment_fixed_size: 280
    .sgpr_count:     68
    .sgpr_spill_count: 0
    .symbol:         bluestein_single_back_len182_dim1_dp_op_CI_CI.kd
    .uniform_work_group_size: 1
    .uses_dynamic_stack: false
    .vgpr_count:     256
    .vgpr_spill_count: 77
    .wavefront_size: 32
    .workgroup_processor_mode: 1
amdhsa.target:   amdgcn-amd-amdhsa--gfx1201
amdhsa.version:
  - 1
  - 2
...

	.end_amdgpu_metadata
